;; amdgpu-corpus repo=ROCm/rocFFT kind=compiled arch=gfx1201 opt=O3
	.text
	.amdgcn_target "amdgcn-amd-amdhsa--gfx1201"
	.amdhsa_code_object_version 6
	.protected	fft_rtc_fwd_len17_factors_17_wgs_120_tpt_1_dp_op_CI_CI_sbrc_aligned ; -- Begin function fft_rtc_fwd_len17_factors_17_wgs_120_tpt_1_dp_op_CI_CI_sbrc_aligned
	.globl	fft_rtc_fwd_len17_factors_17_wgs_120_tpt_1_dp_op_CI_CI_sbrc_aligned
	.p2align	8
	.type	fft_rtc_fwd_len17_factors_17_wgs_120_tpt_1_dp_op_CI_CI_sbrc_aligned,@function
fft_rtc_fwd_len17_factors_17_wgs_120_tpt_1_dp_op_CI_CI_sbrc_aligned: ; @fft_rtc_fwd_len17_factors_17_wgs_120_tpt_1_dp_op_CI_CI_sbrc_aligned
; %bb.0:
	s_load_b256 s[4:11], s[0:1], 0x8
	v_mov_b32_e32 v255, v0
	s_mov_b64 s[34:35], 2
	s_wait_kmcnt 0x0
	s_load_b32 s2, s[6:7], 0x8
	s_load_b128 s[16:19], s[8:9], 0x0
	s_load_b128 s[12:15], s[10:11], 0x0
	s_wait_kmcnt 0x0
	s_add_co_i32 s2, s2, -1
	s_delay_alu instid0(SALU_CYCLE_1) | instskip(NEXT) | instid1(SALU_CYCLE_1)
	s_mul_hi_u32 s2, s2, 0x88888889
	s_lshr_b32 s2, s2, 6
	s_delay_alu instid0(SALU_CYCLE_1) | instskip(NEXT) | instid1(SALU_CYCLE_1)
	s_add_co_i32 s33, s2, 1
	s_cvt_f32_u32 s2, s33
	s_sub_co_i32 s3, 0, s33
	s_delay_alu instid0(SALU_CYCLE_2) | instskip(NEXT) | instid1(TRANS32_DEP_1)
	v_rcp_iflag_f32_e32 v0, s2
	v_readfirstlane_b32 s2, v0
	s_delay_alu instid0(VALU_DEP_1) | instskip(SKIP_1) | instid1(SALU_CYCLE_2)
	s_mul_f32 s2, s2, 0x4f7ffffe
	s_wait_alu 0xfffe
	s_cvt_u32_f32 s2, s2
	s_wait_alu 0xfffe
	s_delay_alu instid0(SALU_CYCLE_2)
	s_mul_i32 s3, s3, s2
	s_wait_alu 0xfffe
	s_mul_hi_u32 s3, s2, s3
	s_wait_alu 0xfffe
	s_add_co_i32 s2, s2, s3
	s_wait_alu 0xfffe
	s_mul_hi_u32 s2, ttmp9, s2
	s_wait_alu 0xfffe
	s_mul_i32 s3, s2, s33
	s_add_co_i32 s15, s2, 1
	s_wait_alu 0xfffe
	s_sub_co_i32 s3, ttmp9, s3
	s_wait_alu 0xfffe
	s_sub_co_i32 s19, s3, s33
	s_cmp_ge_u32 s3, s33
	s_cselect_b32 s2, s15, s2
	s_cselect_b32 s3, s19, s3
	s_wait_alu 0xfffe
	s_add_co_i32 s15, s2, 1
	s_cmp_ge_u32 s3, s33
	s_mov_b32 s3, 0
	s_cselect_b32 s22, s15, s2
	v_cmp_gt_u64_e64 s2, s[4:5], 2
	s_mul_i32 s15, s22, s33
	s_wait_alu 0xfffe
	s_mov_b32 s25, s3
	s_sub_co_i32 s15, ttmp9, s15
	s_delay_alu instid0(SALU_CYCLE_1)
	s_mul_i32 s24, s15, 0x78
	s_and_b32 vcc_lo, exec_lo, s2
	s_mul_i32 s2, s24, s18
	s_mul_u64 s[20:21], s[12:13], s[24:25]
	s_cbranch_vccz .LBB0_8
; %bb.1:
	s_mov_b32 s28, ttmp9
	s_mov_b32 s29, s3
	s_mov_b32 s30, 3
	s_wait_alu 0xfffe
	s_mov_b64 s[26:27], s[2:3]
	s_mov_b32 s2, s22
.LBB0_2:                                ; =>This Inner Loop Header: Depth=1
	s_lshl_b64 s[34:35], s[34:35], 3
	s_mov_b32 s36, s3
	s_add_nc_u64 s[22:23], s[6:7], s[34:35]
	s_load_b64 s[22:23], s[22:23], 0x0
	s_wait_kmcnt 0x0
	s_mov_b32 s37, s23
	s_delay_alu instid0(SALU_CYCLE_1)
	s_cmp_lg_u64 s[36:37], 0
	s_cbranch_scc0 .LBB0_7
; %bb.3:                                ;   in Loop: Header=BB0_2 Depth=1
	s_cvt_f32_u32 s15, s22
	s_cvt_f32_u32 s19, s23
	s_sub_nc_u64 s[40:41], 0, s[22:23]
	s_mov_b32 s37, 0
	s_mov_b32 s45, s3
	s_wait_alu 0xfffe
	s_fmamk_f32 s15, s19, 0x4f800000, s15
	s_wait_alu 0xfffe
	s_delay_alu instid0(SALU_CYCLE_2) | instskip(NEXT) | instid1(TRANS32_DEP_1)
	v_s_rcp_f32 s15, s15
	s_mul_f32 s15, s15, 0x5f7ffffc
	s_wait_alu 0xfffe
	s_delay_alu instid0(SALU_CYCLE_2) | instskip(NEXT) | instid1(SALU_CYCLE_3)
	s_mul_f32 s19, s15, 0x2f800000
	s_trunc_f32 s19, s19
	s_delay_alu instid0(SALU_CYCLE_3) | instskip(SKIP_2) | instid1(SALU_CYCLE_1)
	s_fmamk_f32 s15, s19, 0xcf800000, s15
	s_cvt_u32_f32 s39, s19
	s_wait_alu 0xfffe
	s_cvt_u32_f32 s38, s15
	s_wait_alu 0xfffe
	s_delay_alu instid0(SALU_CYCLE_2)
	s_mul_u64 s[42:43], s[40:41], s[38:39]
	s_wait_alu 0xfffe
	s_mul_hi_u32 s47, s38, s43
	s_mul_i32 s46, s38, s43
	s_mul_hi_u32 s36, s38, s42
	s_mul_i32 s19, s39, s42
	s_add_nc_u64 s[46:47], s[36:37], s[46:47]
	s_mul_hi_u32 s15, s39, s42
	s_mul_hi_u32 s25, s39, s43
	s_add_co_u32 s19, s46, s19
	s_wait_alu 0xfffe
	s_add_co_ci_u32 s44, s47, s15
	s_mul_i32 s42, s39, s43
	s_add_co_ci_u32 s43, s25, 0
	s_wait_alu 0xfffe
	s_add_nc_u64 s[42:43], s[44:45], s[42:43]
	s_wait_alu 0xfffe
	v_add_co_u32 v0, s15, s38, s42
	s_delay_alu instid0(VALU_DEP_1) | instskip(SKIP_1) | instid1(VALU_DEP_1)
	s_cmp_lg_u32 s15, 0
	s_add_co_ci_u32 s39, s39, s43
	v_readfirstlane_b32 s38, v0
	s_mov_b32 s43, s3
	s_wait_alu 0xfffe
	s_delay_alu instid0(VALU_DEP_1)
	s_mul_u64 s[40:41], s[40:41], s[38:39]
	s_wait_alu 0xfffe
	s_mul_hi_u32 s45, s38, s41
	s_mul_i32 s44, s38, s41
	s_mul_hi_u32 s36, s38, s40
	s_mul_i32 s19, s39, s40
	s_add_nc_u64 s[44:45], s[36:37], s[44:45]
	s_mul_hi_u32 s15, s39, s40
	s_mul_hi_u32 s25, s39, s41
	s_add_co_u32 s19, s44, s19
	s_wait_alu 0xfffe
	s_add_co_ci_u32 s42, s45, s15
	s_mul_i32 s40, s39, s41
	s_add_co_ci_u32 s41, s25, 0
	s_wait_alu 0xfffe
	s_add_nc_u64 s[40:41], s[42:43], s[40:41]
	s_mov_b32 s42, s3
	s_wait_alu 0xfffe
	v_add_co_u32 v0, s15, v0, s40
	s_delay_alu instid0(VALU_DEP_1) | instskip(SKIP_1) | instid1(VALU_DEP_1)
	s_cmp_lg_u32 s15, 0
	s_add_co_ci_u32 s19, s39, s41
	v_readfirstlane_b32 s15, v0
	s_mul_hi_u32 s41, s2, s19
	s_mul_i32 s40, s2, s19
	s_mov_b32 s39, s3
	s_delay_alu instid0(VALU_DEP_1)
	s_mul_hi_u32 s36, s2, s15
	s_wait_alu 0xfffe
	s_add_nc_u64 s[40:41], s[36:37], s[40:41]
	s_wait_alu 0xfffe
	s_mov_b32 s38, s41
	s_wait_alu 0xfffe
	s_or_b64 s[38:39], s[38:39], s[42:43]
	s_mov_b32 s38, s41
	s_wait_alu 0xfffe
	s_mul_u64 s[42:43], s[22:23], s[38:39]
	s_add_nc_u64 s[44:45], s[38:39], 1
	s_wait_alu 0xfffe
	v_sub_co_u32 v0, s15, s2, s42
	s_sub_co_i32 s19, 0, s43
	s_cmp_lg_u32 s15, 0
	s_add_nc_u64 s[46:47], s[38:39], 2
	s_delay_alu instid0(VALU_DEP_1) | instskip(SKIP_2) | instid1(VALU_DEP_1)
	v_sub_co_u32 v1, s25, v0, s22
	s_sub_co_ci_u32 s19, s19, s23
	s_cmp_lg_u32 s25, 0
	v_readfirstlane_b32 s25, v1
	s_sub_co_ci_u32 s19, s19, 0
	s_delay_alu instid0(SALU_CYCLE_1) | instskip(SKIP_1) | instid1(VALU_DEP_1)
	s_cmp_ge_u32 s19, s23
	s_cselect_b32 s31, -1, 0
	s_cmp_ge_u32 s25, s22
	s_cselect_b32 s25, -1, 0
	s_cmp_eq_u32 s19, s23
	s_wait_alu 0xfffe
	s_cselect_b32 s19, s25, s31
	s_delay_alu instid0(SALU_CYCLE_1)
	s_cmp_lg_u32 s19, 0
	s_cselect_b32 s19, s46, s44
	s_cselect_b32 s25, s47, s45
	s_cmp_lg_u32 s15, 0
	v_readfirstlane_b32 s15, v0
	s_sub_co_ci_u32 s31, 0, s43
	s_wait_alu 0xfffe
	s_cmp_ge_u32 s31, s23
	s_cselect_b32 s36, -1, 0
	s_cmp_ge_u32 s15, s22
	s_cselect_b32 s15, -1, 0
	s_cmp_eq_u32 s31, s23
	s_wait_alu 0xfffe
	s_cselect_b32 s15, s15, s36
	s_wait_alu 0xfffe
	s_cmp_lg_u32 s15, 0
	s_cselect_b32 s39, s25, s39
	s_cselect_b32 s38, s19, s41
	s_cbranch_execnz .LBB0_5
.LBB0_4:                                ;   in Loop: Header=BB0_2 Depth=1
	v_cvt_f32_u32_e32 v0, s22
	s_sub_co_i32 s19, 0, s22
	s_mov_b32 s39, s3
	s_delay_alu instid0(VALU_DEP_1) | instskip(NEXT) | instid1(TRANS32_DEP_1)
	v_rcp_iflag_f32_e32 v0, v0
	v_mul_f32_e32 v0, 0x4f7ffffe, v0
	s_delay_alu instid0(VALU_DEP_1) | instskip(NEXT) | instid1(VALU_DEP_1)
	v_cvt_u32_f32_e32 v0, v0
	v_readfirstlane_b32 s15, v0
	s_delay_alu instid0(VALU_DEP_1) | instskip(NEXT) | instid1(SALU_CYCLE_1)
	s_mul_i32 s19, s19, s15
	s_mul_hi_u32 s19, s15, s19
	s_delay_alu instid0(SALU_CYCLE_1)
	s_add_co_i32 s15, s15, s19
	s_wait_alu 0xfffe
	s_mul_hi_u32 s15, s2, s15
	s_wait_alu 0xfffe
	s_mul_i32 s19, s15, s22
	s_add_co_i32 s25, s15, 1
	s_sub_co_i32 s19, s2, s19
	s_delay_alu instid0(SALU_CYCLE_1)
	s_sub_co_i32 s31, s19, s22
	s_cmp_ge_u32 s19, s22
	s_cselect_b32 s15, s25, s15
	s_wait_alu 0xfffe
	s_cselect_b32 s19, s31, s19
	s_add_co_i32 s25, s15, 1
	s_cmp_ge_u32 s19, s22
	s_cselect_b32 s38, s25, s15
.LBB0_5:                                ;   in Loop: Header=BB0_2 Depth=1
	s_add_nc_u64 s[36:37], s[8:9], s[34:35]
	s_add_nc_u64 s[34:35], s[10:11], s[34:35]
	s_load_b64 s[36:37], s[36:37], 0x0
	s_load_b64 s[40:41], s[34:35], 0x0
	s_mov_b32 s31, s3
	s_mul_u64 s[34:35], s[38:39], s[22:23]
	s_wait_alu 0xfffe
	v_cmp_ge_u64_e64 s15, s[30:31], s[4:5]
	s_mul_i32 s33, s33, s22
	s_sub_nc_u64 s[22:23], s[2:3], s[34:35]
	s_mov_b64 s[34:35], s[30:31]
	s_add_co_i32 s30, s30, 1
	s_delay_alu instid0(VALU_DEP_1)
	s_and_b32 vcc_lo, exec_lo, s15
	s_wait_kmcnt 0x0
	s_wait_alu 0xfffe
	s_mul_u64 s[36:37], s[36:37], s[22:23]
	s_mul_u64 s[22:23], s[40:41], s[22:23]
	s_add_nc_u64 s[26:27], s[36:37], s[26:27]
	s_wait_alu 0xfffe
	s_add_nc_u64 s[20:21], s[22:23], s[20:21]
	s_cbranch_vccnz .LBB0_9
; %bb.6:                                ;   in Loop: Header=BB0_2 Depth=1
	s_mov_b32 s2, s38
	s_branch .LBB0_2
.LBB0_7:                                ;   in Loop: Header=BB0_2 Depth=1
                                        ; implicit-def: $sgpr38_sgpr39
	s_branch .LBB0_4
.LBB0_8:
	s_wait_alu 0xfffe
	s_mov_b64 s[26:27], s[2:3]
	s_branch .LBB0_10
.LBB0_9:
	s_cvt_f32_u32 s2, s33
	s_sub_co_i32 s3, 0, s33
	s_wait_alu 0xfffe
	s_delay_alu instid0(SALU_CYCLE_1) | instskip(NEXT) | instid1(TRANS32_DEP_1)
	v_rcp_iflag_f32_e32 v0, s2
	v_readfirstlane_b32 s2, v0
	s_delay_alu instid0(VALU_DEP_1) | instskip(SKIP_1) | instid1(SALU_CYCLE_2)
	s_mul_f32 s2, s2, 0x4f7ffffe
	s_wait_alu 0xfffe
	s_cvt_u32_f32 s2, s2
	s_wait_alu 0xfffe
	s_delay_alu instid0(SALU_CYCLE_2)
	s_mul_i32 s3, s3, s2
	s_wait_alu 0xfffe
	s_mul_hi_u32 s6, s2, s3
	s_mov_b32 s3, 0
	s_add_co_i32 s2, s2, s6
	s_wait_alu 0xfffe
	s_mul_u64 s[2:3], s[28:29], s[2:3]
	s_wait_alu 0xfffe
	s_mul_i32 s2, s3, s33
	s_add_co_i32 s6, s3, 1
	s_wait_alu 0xfffe
	s_sub_co_i32 s2, ttmp9, s2
	s_wait_alu 0xfffe
	s_sub_co_i32 s7, s2, s33
	s_cmp_ge_u32 s2, s33
	s_cselect_b32 s3, s6, s3
	s_cselect_b32 s2, s7, s2
	s_wait_alu 0xfffe
	s_add_co_i32 s6, s3, 1
	s_cmp_ge_u32 s2, s33
	s_cselect_b32 s22, s6, s3
.LBB0_10:
	v_dual_mov_b32 v41, 0 :: v_dual_add_nc_u32 v0, 0x78, v255
	v_mul_u32_u24_e32 v1, 0xf10, v255
	v_add_nc_u32_e32 v7, 0xf0, v255
	s_lshl_b64 s[4:5], s[4:5], 3
	s_delay_alu instid0(VALU_DEP_3)
	v_mul_u32_u24_e32 v2, 0xf10, v0
	s_wait_alu 0xfffe
	s_add_nc_u64 s[6:7], s[8:9], s[4:5]
	v_lshrrev_b32_e32 v1, 16, v1
	v_mul_u32_u24_e32 v4, 0xf10, v7
	s_load_b64 s[6:7], s[6:7], 0x0
	v_lshrrev_b32_e32 v9, 16, v2
	v_add_nc_u32_e32 v13, 0x1e0, v255
	v_mul_lo_u16 v2, v1, 17
	v_lshrrev_b32_e32 v14, 16, v4
	v_mul_lo_u32 v40, s18, v1
	v_mul_lo_u16 v3, v9, 17
	s_load_b128 s[0:3], s[0:1], 0x58
	v_sub_nc_u16 v2, v255, v2
	v_mul_lo_u16 v10, v14, 17
	v_mul_u32_u24_e32 v6, 0xf10, v13
	v_sub_nc_u16 v0, v0, v3
	s_mov_b32 s23, 0
	v_and_b32_e32 v8, 0xffff, v2
	v_sub_nc_u16 v10, v7, v10
	v_lshrrev_b32_e32 v16, 16, v6
	v_and_b32_e32 v0, 0xffff, v0
	s_lshl_b64 s[8:9], s[26:27], 4
	v_mad_co_u64_u32 v[1:2], null, s16, v8, 0
	v_and_b32_e32 v17, 0xffff, v10
	s_delay_alu instid0(VALU_DEP_3)
	v_mad_co_u64_u32 v[3:4], null, s16, v0, 0
	s_wait_kmcnt 0x0
	s_wait_alu 0xfffe
	s_mul_u64 s[6:7], s[6:7], s[22:23]
	v_mul_lo_u16 v18, v16, 17
	s_lshl_b64 s[6:7], s[6:7], 4
	v_add_nc_u32_e32 v19, 0x690, v255
	s_add_nc_u64 s[0:1], s[0:1], s[6:7]
	v_lshl_add_u32 v49, v255, 4, 0
	v_mad_co_u64_u32 v[7:8], null, s17, v8, v[2:3]
	v_add_nc_u32_e32 v11, 0x168, v255
	s_add_nc_u64 s[0:1], s[0:1], s[8:9]
	v_sub_nc_u16 v13, v13, v18
	v_mul_u32_u24_e32 v29, 0xf10, v19
	s_mov_b32 s36, 0x5d8e7cdc
	s_mov_b32 s42, 0x2a9d6da3
	s_delay_alu instid0(VALU_DEP_4)
	v_mov_b32_e32 v2, v7
	v_mul_u32_u24_e32 v5, 0xf10, v11
	v_lshrrev_b32_e32 v46, 16, v29
	s_mov_b32 s46, 0x7c9e640b
	s_mov_b32 s40, 0xeb564b22
	v_lshlrev_b64_e32 v[1:2], 4, v[1:2]
	v_lshrrev_b32_e32 v15, 16, v5
	v_lshlrev_b64_e32 v[5:6], 4, v[40:41]
	v_mul_lo_u32 v40, s18, v9
	s_mov_b32 s28, 0x923c349f
	s_mov_b32 s30, 0x6c9a05f6
	v_mul_lo_u16 v12, v15, 17
	v_add_co_u32 v1, vcc_lo, s0, v1
	v_mad_co_u64_u32 v[8:9], null, s17, v0, v[4:5]
	s_delay_alu instid0(VALU_DEP_3) | instskip(SKIP_2) | instid1(VALU_DEP_3)
	v_sub_nc_u16 v0, v11, v12
	v_mad_co_u64_u32 v[9:10], null, s16, v17, 0
	v_add_co_ci_u32_e32 v2, vcc_lo, s1, v2, vcc_lo
	v_and_b32_e32 v0, 0xffff, v0
	v_mov_b32_e32 v4, v8
	v_add_co_u32 v1, vcc_lo, v1, v5
	v_mad_co_u64_u32 v[10:11], null, s17, v17, v[10:11]
	s_delay_alu instid0(VALU_DEP_3) | instskip(SKIP_4) | instid1(VALU_DEP_4)
	v_lshlrev_b64_e32 v[3:4], 4, v[3:4]
	v_mad_co_u64_u32 v[11:12], null, s16, v0, 0
	s_wait_alu 0xfffd
	v_add_co_ci_u32_e32 v2, vcc_lo, v2, v6, vcc_lo
	v_lshlrev_b64_e32 v[7:8], 4, v[40:41]
	v_add_co_u32 v18, vcc_lo, s0, v3
	v_and_b32_e32 v17, 0xffff, v13
	s_wait_alu 0xfffd
	v_add_co_ci_u32_e32 v4, vcc_lo, s1, v4, vcc_lo
	v_mov_b32_e32 v3, v12
	v_mul_lo_u32 v40, s18, v14
	v_mad_co_u64_u32 v[5:6], null, s16, v17, 0
	s_mov_b32 s34, 0x4363dd80
	s_delay_alu instid0(VALU_DEP_3)
	v_mad_co_u64_u32 v[12:13], null, s17, v0, v[3:4]
	v_add_co_u32 v3, vcc_lo, v18, v7
	s_wait_alu 0xfffd
	v_add_co_ci_u32_e32 v4, vcc_lo, v4, v8, vcc_lo
	v_lshlrev_b64_e32 v[7:8], 4, v[9:10]
	v_lshlrev_b64_e32 v[9:10], 4, v[40:41]
	v_mul_lo_u32 v40, s18, v15
	v_add_nc_u32_e32 v18, 0x618, v255
	s_mov_b32 s38, 0xacd6c6b4
	s_mov_b32 s37, 0xbfd71e95
	v_mad_co_u64_u32 v[13:14], null, s17, v17, v[6:7]
	v_add_co_u32 v0, vcc_lo, s0, v7
	s_wait_alu 0xfffd
	v_add_co_ci_u32_e32 v14, vcc_lo, s1, v8, vcc_lo
	v_lshlrev_b64_e32 v[7:8], 4, v[11:12]
	v_lshlrev_b64_e32 v[11:12], 4, v[40:41]
	v_mov_b32_e32 v6, v13
	v_mul_lo_u32 v40, s18, v16
	v_add_co_u32 v9, vcc_lo, v0, v9
	s_wait_alu 0xfffd
	v_add_co_ci_u32_e32 v10, vcc_lo, v14, v10, vcc_lo
	v_lshlrev_b64_e32 v[5:6], 4, v[5:6]
	v_add_co_u32 v0, vcc_lo, s0, v7
	s_wait_alu 0xfffd
	v_add_co_ci_u32_e32 v13, vcc_lo, s1, v8, vcc_lo
	v_lshlrev_b64_e32 v[7:8], 4, v[40:41]
	s_delay_alu instid0(VALU_DEP_4)
	v_add_co_u32 v14, vcc_lo, s0, v5
	s_wait_alu 0xfffd
	v_add_co_ci_u32_e32 v15, vcc_lo, s1, v6, vcc_lo
	v_add_co_u32 v5, vcc_lo, v0, v11
	s_wait_alu 0xfffd
	v_add_co_ci_u32_e32 v6, vcc_lo, v13, v12, vcc_lo
	v_add_nc_u32_e32 v0, 0x258, v255
	v_add_nc_u32_e32 v11, 0x2d0, v255
	;; [unrolled: 1-line block ×3, first 2 shown]
	v_add_co_u32 v7, vcc_lo, v14, v7
	s_wait_alu 0xfffd
	v_add_co_ci_u32_e32 v8, vcc_lo, v15, v8, vcc_lo
	v_add_nc_u32_e32 v15, 0x4b0, v255
	v_mul_u32_u24_e32 v20, 0xf10, v0
	v_mul_u32_u24_e32 v21, 0xf10, v11
	;; [unrolled: 1-line block ×3, first 2 shown]
	v_add_nc_u32_e32 v13, 0x3c0, v255
	v_add_nc_u32_e32 v14, 0x438, v255
	;; [unrolled: 1-line block ×3, first 2 shown]
	v_mul_u32_u24_e32 v25, 0xf10, v15
	v_lshrrev_b32_e32 v30, 16, v20
	v_lshrrev_b32_e32 v31, 16, v21
	;; [unrolled: 1-line block ×3, first 2 shown]
	v_mul_u32_u24_e32 v23, 0xf10, v13
	v_mul_u32_u24_e32 v24, 0xf10, v14
	;; [unrolled: 1-line block ×3, first 2 shown]
	v_lshrrev_b32_e32 v35, 16, v25
	v_mul_lo_u16 v20, v30, 17
	v_mul_lo_u16 v21, v31, 17
	;; [unrolled: 1-line block ×3, first 2 shown]
	v_add_nc_u32_e32 v17, 0x5a0, v255
	v_mul_u32_u24_e32 v28, 0xf10, v18
	v_lshrrev_b32_e32 v33, 16, v23
	v_lshrrev_b32_e32 v34, 16, v24
	;; [unrolled: 1-line block ×3, first 2 shown]
	v_sub_nc_u16 v0, v0, v20
	v_mul_lo_u16 v20, v35, 17
	v_sub_nc_u16 v11, v11, v21
	v_sub_nc_u16 v22, v12, v22
	v_mul_u32_u24_e32 v27, 0xf10, v17
	v_lshrrev_b32_e32 v45, 16, v28
	v_mul_lo_u16 v23, v33, 17
	v_mul_lo_u16 v24, v34, 17
	;; [unrolled: 1-line block ×3, first 2 shown]
	v_and_b32_e32 v0, 0xffff, v0
	v_sub_nc_u16 v28, v15, v20
	v_and_b32_e32 v20, 0xffff, v11
	v_and_b32_e32 v22, 0xffff, v22
	v_lshrrev_b32_e32 v44, 16, v27
	v_sub_nc_u16 v23, v13, v23
	v_sub_nc_u16 v24, v14, v24
	v_mad_co_u64_u32 v[11:12], null, s16, v0, 0
	v_mad_co_u64_u32 v[13:14], null, s16, v20, 0
	v_sub_nc_u16 v29, v16, v21
	v_mad_co_u64_u32 v[15:16], null, s16, v22, 0
	v_mul_lo_u16 v25, v44, 17
	v_mul_lo_u16 v26, v45, 17
	;; [unrolled: 1-line block ×3, first 2 shown]
	v_mul_lo_u32 v40, s18, v30
	v_and_b32_e32 v30, 0xffff, v28
	v_sub_nc_u16 v37, v17, v25
	v_sub_nc_u16 v38, v18, v26
	v_mad_co_u64_u32 v[17:18], null, s17, v0, v[12:13]
	v_mov_b32_e32 v12, v16
	v_and_b32_e32 v0, 0xffff, v23
	v_sub_nc_u16 v39, v19, v27
	v_mad_co_u64_u32 v[18:19], null, s17, v20, v[14:15]
	s_delay_alu instid0(VALU_DEP_4) | instskip(NEXT) | instid1(VALU_DEP_4)
	v_mad_co_u64_u32 v[19:20], null, s17, v22, v[12:13]
	v_mad_co_u64_u32 v[20:21], null, s16, v0, 0
	v_mov_b32_e32 v12, v17
	v_and_b32_e32 v42, 0xffff, v29
	v_and_b32_e32 v47, 0xffff, v38
	v_dual_mov_b32 v16, v19 :: v_dual_and_b32 v39, 0xffff, v39
	s_delay_alu instid0(VALU_DEP_4)
	v_lshlrev_b64_e32 v[11:12], 4, v[11:12]
	v_mov_b32_e32 v14, v21
	s_mov_b32 s43, 0xbfe58eea
	s_mov_b32 s47, 0xbfeca52d
	;; [unrolled: 1-line block ×4, first 2 shown]
	v_mad_co_u64_u32 v[21:22], null, s17, v0, v[14:15]
	v_mov_b32_e32 v14, v18
	v_and_b32_e32 v0, 0xffff, v24
	v_lshlrev_b64_e32 v[24:25], 4, v[40:41]
	v_mul_lo_u32 v40, s18, v31
	v_add_co_u32 v19, vcc_lo, s0, v11
	s_wait_alu 0xfffd
	v_add_co_ci_u32_e32 v26, vcc_lo, s1, v12, vcc_lo
	v_lshlrev_b64_e32 v[13:14], 4, v[13:14]
	s_delay_alu instid0(VALU_DEP_3)
	v_add_co_u32 v19, vcc_lo, v19, v24
	v_lshlrev_b64_e32 v[15:16], 4, v[15:16]
	v_lshlrev_b64_e32 v[11:12], 4, v[20:21]
	s_wait_alu 0xfffd
	v_add_co_ci_u32_e32 v20, vcc_lo, v26, v25, vcc_lo
	v_lshlrev_b64_e32 v[24:25], 4, v[40:41]
	v_mul_lo_u32 v40, s18, v32
	v_add_co_u32 v21, vcc_lo, s0, v13
	s_wait_alu 0xfffd
	v_add_co_ci_u32_e32 v26, vcc_lo, s1, v14, vcc_lo
	v_add_co_u32 v15, vcc_lo, s0, v15
	s_wait_alu 0xfffd
	v_add_co_ci_u32_e32 v16, vcc_lo, s1, v16, vcc_lo
	v_lshlrev_b64_e32 v[13:14], 4, v[40:41]
	v_mul_lo_u32 v40, s18, v33
	v_add_co_u32 v28, vcc_lo, s0, v11
	s_wait_alu 0xfffd
	v_add_co_ci_u32_e32 v29, vcc_lo, s1, v12, vcc_lo
	v_mad_co_u64_u32 v[17:18], null, s16, v0, 0
	v_add_co_u32 v24, vcc_lo, v21, v24
	s_wait_alu 0xfffd
	v_add_co_ci_u32_e32 v25, vcc_lo, v26, v25, vcc_lo
	v_add_co_u32 v26, vcc_lo, v15, v13
	v_lshlrev_b64_e32 v[11:12], 4, v[40:41]
	s_wait_alu 0xfffd
	v_add_co_ci_u32_e32 v27, vcc_lo, v16, v14, vcc_lo
	v_mad_co_u64_u32 v[14:15], null, s16, v42, 0
	v_mad_co_u64_u32 v[22:23], null, s16, v30, 0
	v_mov_b32_e32 v13, v18
	v_add_co_u32 v28, vcc_lo, v28, v11
	s_wait_alu 0xfffd
	v_add_co_ci_u32_e32 v29, vcc_lo, v29, v12, vcc_lo
	s_delay_alu instid0(VALU_DEP_3) | instskip(SKIP_4) | instid1(VALU_DEP_4)
	v_mad_co_u64_u32 v[12:13], null, s17, v0, v[13:14]
	v_mov_b32_e32 v11, v23
	v_dual_mov_b32 v13, v15 :: v_dual_and_b32 v0, 0xffff, v37
	v_mul_lo_u32 v40, s18, v34
	v_mad_co_u64_u32 v[37:38], null, s16, v39, 0
	v_mad_co_u64_u32 v[15:16], null, s17, v30, v[11:12]
	s_delay_alu instid0(VALU_DEP_4) | instskip(SKIP_3) | instid1(VALU_DEP_4)
	v_mad_co_u64_u32 v[30:31], null, s17, v42, v[13:14]
	v_mad_co_u64_u32 v[31:32], null, s16, v0, 0
	v_mov_b32_e32 v18, v12
	s_mov_b32 s31, 0xbfe9895b
	v_mov_b32_e32 v23, v15
	s_mov_b32 s35, 0xbfe0d888
	s_delay_alu instid0(VALU_DEP_4) | instskip(SKIP_1) | instid1(VALU_DEP_4)
	v_mov_b32_e32 v15, v30
	s_mov_b32 s39, 0xbfc7851a
	v_mov_b32_e32 v11, v32
	s_mov_b32 s26, 0x370991
	s_mov_b32 s8, 0x6ed5f1bb
	;; [unrolled: 1-line block ×4, first 2 shown]
	v_mad_co_u64_u32 v[32:33], null, s17, v0, v[11:12]
	v_lshlrev_b64_e32 v[11:12], 4, v[17:18]
	v_lshlrev_b64_e32 v[16:17], 4, v[22:23]
	v_lshlrev_b64_e32 v[21:22], 4, v[40:41]
	v_mul_lo_u32 v40, s18, v35
	v_mad_co_u64_u32 v[33:34], null, s16, v47, 0
	v_add_co_u32 v0, vcc_lo, s0, v11
	s_wait_alu 0xfffd
	v_add_co_ci_u32_e32 v13, vcc_lo, s1, v12, vcc_lo
	v_lshlrev_b64_e32 v[11:12], 4, v[14:15]
	s_delay_alu instid0(VALU_DEP_3) | instskip(SKIP_1) | instid1(VALU_DEP_3)
	v_add_co_u32 v21, vcc_lo, v0, v21
	s_wait_alu 0xfffd
	v_add_co_ci_u32_e32 v22, vcc_lo, v13, v22, vcc_lo
	v_lshlrev_b64_e32 v[13:14], 4, v[40:41]
	v_mul_lo_u32 v40, s18, v36
	v_add_co_u32 v0, vcc_lo, s0, v16
	s_wait_alu 0xfffd
	v_add_co_ci_u32_e32 v15, vcc_lo, s1, v17, vcc_lo
	v_add_co_u32 v16, vcc_lo, s0, v11
	s_wait_alu 0xfffd
	v_add_co_ci_u32_e32 v17, vcc_lo, s1, v12, vcc_lo
	v_lshlrev_b64_e32 v[11:12], 4, v[40:41]
	v_add_co_u32 v35, vcc_lo, v0, v13
	s_wait_alu 0xfffd
	v_add_co_ci_u32_e32 v36, vcc_lo, v15, v14, vcc_lo
	v_mul_lo_u32 v40, s18, v44
	s_delay_alu instid0(VALU_DEP_4)
	v_add_co_u32 v42, vcc_lo, v16, v11
	s_wait_alu 0xfffd
	v_add_co_ci_u32_e32 v43, vcc_lo, v17, v12, vcc_lo
	global_load_b128 v[11:14], v[1:2], off
	v_dual_mov_b32 v1, v34 :: v_dual_mov_b32 v2, v38
	v_add_nc_u32_e32 v0, 0x708, v255
	s_mov_b32 s9, 0xbfe348c8
	s_mov_b32 s7, 0xbfeb34fa
	;; [unrolled: 1-line block ×3, first 2 shown]
	v_mad_co_u64_u32 v[15:16], null, s17, v47, v[1:2]
	v_mad_co_u64_u32 v[38:39], null, s17, v39, v[2:3]
	global_load_b128 v[1:4], v[3:4], off
	s_mov_b32 s54, s34
	s_mov_b32 s53, 0x3feec746
	s_mov_b32 s52, s28
	v_mov_b32_e32 v34, v15
	global_load_b128 v[15:18], v[9:10], off
	v_lshlrev_b64_e32 v[9:10], 4, v[31:32]
	v_lshlrev_b64_e32 v[30:31], 4, v[40:41]
	v_mul_lo_u32 v40, s18, v45
	s_mov_b32 s45, 0x3feca52d
	s_mov_b32 s44, s46
	s_mov_b32 s49, 0x3fd71e95
	v_add_co_u32 v23, vcc_lo, s0, v9
	s_wait_alu 0xfffd
	v_add_co_ci_u32_e32 v32, vcc_lo, s1, v10, vcc_lo
	v_lshlrev_b64_e32 v[9:10], 4, v[33:34]
	s_delay_alu instid0(VALU_DEP_3) | instskip(SKIP_1) | instid1(VALU_DEP_3)
	v_add_co_u32 v30, vcc_lo, v23, v30
	s_wait_alu 0xfffd
	v_add_co_ci_u32_e32 v31, vcc_lo, v32, v31, vcc_lo
	v_lshlrev_b64_e32 v[32:33], 4, v[40:41]
	v_mul_lo_u32 v40, s18, v46
	v_add_co_u32 v23, vcc_lo, s0, v9
	s_wait_alu 0xfffd
	v_add_co_ci_u32_e32 v34, vcc_lo, s1, v10, vcc_lo
	v_lshlrev_b64_e32 v[9:10], 4, v[37:38]
	s_delay_alu instid0(VALU_DEP_3) | instskip(SKIP_1) | instid1(VALU_DEP_3)
	v_add_co_u32 v32, vcc_lo, v23, v32
	s_wait_alu 0xfffd
	v_add_co_ci_u32_e32 v33, vcc_lo, v34, v33, vcc_lo
	v_lshlrev_b64_e32 v[37:38], 4, v[40:41]
	s_delay_alu instid0(VALU_DEP_4) | instskip(SKIP_3) | instid1(VALU_DEP_3)
	v_add_co_u32 v9, vcc_lo, s0, v9
	s_wait_alu 0xfffd
	v_add_co_ci_u32_e32 v10, vcc_lo, s1, v10, vcc_lo
	v_mul_u32_u24_e32 v23, 0xf10, v0
	v_add_co_u32 v37, vcc_lo, v9, v37
	v_or_b32_e32 v9, 0x780, v255
	s_wait_alu 0xfffd
	v_add_co_ci_u32_e32 v38, vcc_lo, v10, v38, vcc_lo
	v_lshrrev_b32_e32 v23, 16, v23
	s_mov_b32 s48, s36
	v_mul_u32_u24_e32 v10, 0xf10, v9
	s_mov_b32 s51, 0x3fc7851a
	s_wait_alu 0xfffe
	s_mov_b32 s50, s38
	v_mul_lo_u16 v34, v23, 17
	s_mov_b32 s57, 0x3fe9895b
	v_lshrrev_b32_e32 v48, 16, v10
	s_mov_b32 s56, s30
	s_delay_alu instid0(VALU_DEP_2) | instskip(NEXT) | instid1(VALU_DEP_2)
	v_sub_nc_u16 v0, v0, v34
	v_mul_lo_u16 v10, v48, 17
	s_delay_alu instid0(VALU_DEP_2) | instskip(NEXT) | instid1(VALU_DEP_2)
	v_and_b32_e32 v0, 0xffff, v0
	v_sub_nc_u16 v9, v9, v10
	s_delay_alu instid0(VALU_DEP_2) | instskip(NEXT) | instid1(VALU_DEP_2)
	v_mad_co_u64_u32 v[44:45], null, s16, v0, 0
	v_and_b32_e32 v9, 0xffff, v9
	s_delay_alu instid0(VALU_DEP_1)
	v_mad_co_u64_u32 v[46:47], null, s16, v9, 0
	s_wait_loadcnt 0x2
	ds_store_b128 v49, v[11:14]
	s_wait_loadcnt 0x1
	ds_store_b128 v49, v[1:4] offset:1920
	v_dual_mov_b32 v1, v45 :: v_dual_mov_b32 v2, v47
	s_wait_loadcnt 0x0
	ds_store_b128 v49, v[15:18] offset:3840
	v_mad_co_u64_u32 v[13:14], null, s17, v0, v[1:2]
	v_mad_co_u64_u32 v[39:40], null, s17, v9, v[2:3]
	s_clause 0x3
	global_load_b128 v[1:4], v[5:6], off
	global_load_b128 v[5:8], v[7:8], off
	;; [unrolled: 1-line block ×4, first 2 shown]
	v_mul_lo_u32 v40, s18, v23
	v_mov_b32_e32 v45, v13
	global_load_b128 v[13:16], v[24:25], off
	v_mov_b32_e32 v47, v39
	s_mov_b32 s16, 0x3259b75e
	s_mov_b32 s17, 0x3fb79ee6
	v_lshlrev_b64_e32 v[23:24], 4, v[44:45]
	s_wait_loadcnt 0x4
	ds_store_b128 v49, v[1:4] offset:5760
	s_wait_loadcnt 0x3
	ds_store_b128 v49, v[5:8] offset:7680
	;; [unrolled: 2-line block ×3, first 2 shown]
	v_lshlrev_b64_e32 v[9:10], 4, v[40:41]
	v_mul_lo_u32 v40, s18, v48
	v_lshlrev_b64_e32 v[11:12], 4, v[46:47]
	v_add_co_u32 v0, vcc_lo, s0, v23
	s_clause 0x1
	global_load_b128 v[1:4], v[28:29], off
	global_load_b128 v[5:8], v[21:22], off
	s_wait_loadcnt 0x2
	ds_store_b128 v49, v[13:16] offset:11520
	s_wait_alu 0xfffd
	v_add_co_ci_u32_e32 v15, vcc_lo, s1, v24, vcc_lo
	v_lshlrev_b64_e32 v[13:14], 4, v[40:41]
	v_add_co_u32 v11, vcc_lo, s0, v11
	s_wait_alu 0xfffd
	v_add_co_ci_u32_e32 v12, vcc_lo, s1, v12, vcc_lo
	v_add_co_u32 v39, vcc_lo, v0, v9
	s_wait_alu 0xfffd
	v_add_co_ci_u32_e32 v40, vcc_lo, v15, v10, vcc_lo
	;; [unrolled: 3-line block ×3, first 2 shown]
	s_clause 0x6
	global_load_b128 v[9:12], v[35:36], off
	global_load_b128 v[13:16], v[42:43], off
	;; [unrolled: 1-line block ×7, first 2 shown]
	v_add_nc_u32_e32 v0, s24, v255
	ds_store_b128 v49, v[17:20] offset:13440
	s_add_nc_u64 s[0:1], s[10:11], s[4:5]
	s_mov_b32 s24, 0x75d4884
	s_load_b64 s[0:1], s[0:1], 0x0
	v_mul_hi_u32 v17, 0x88888889, v0
	s_mov_b32 s18, 0x2b2883cd
	s_mov_b32 s10, 0xc61f0d01
	;; [unrolled: 1-line block ×7, first 2 shown]
	v_lshrrev_b32_e32 v17, 6, v17
	s_wait_loadcnt 0x8
	ds_store_b128 v49, v[1:4] offset:15360
	s_wait_loadcnt 0x7
	ds_store_b128 v49, v[5:8] offset:17280
	s_wait_loadcnt 0x6
	ds_store_b128 v49, v[9:12] offset:19200
	s_wait_loadcnt 0x5
	ds_store_b128 v49, v[13:16] offset:21120
	s_wait_loadcnt 0x4
	ds_store_b128 v49, v[21:24] offset:23040
	s_wait_loadcnt 0x3
	ds_store_b128 v49, v[25:28] offset:24960
	s_wait_loadcnt 0x2
	ds_store_b128 v49, v[29:32] offset:26880
	s_wait_loadcnt 0x1
	ds_store_b128 v49, v[33:36] offset:28800
	s_wait_loadcnt 0x0
	ds_store_b128 v49, v[37:40] offset:30720
	v_mul_lo_u32 v17, 0x78, v17
	global_wb scope:SCOPE_SE
	s_wait_dscnt 0x0
	s_wait_kmcnt 0x0
	s_barrier_signal -1
	s_barrier_wait -1
	global_inv scope:SCOPE_SE
	s_mul_u64 s[0:1], s[0:1], s[22:23]
	s_wait_alu 0xfffe
	s_lshl_b64 s[0:1], s[0:1], 4
	v_sub_nc_u32_e32 v0, v0, v17
	s_wait_alu 0xfffe
	s_add_nc_u64 s[0:1], s[2:3], s[0:1]
	s_lshl_b64 s[2:3], s[20:21], 4
	s_wait_alu 0xfffe
	s_add_nc_u64 s[0:1], s[0:1], s[2:3]
	v_mad_u32_u24 v194, 0x110, v0, 0
	ds_load_b128 v[1:4], v194
	ds_load_b128 v[5:8], v194 offset:16
	ds_load_b128 v[9:12], v194 offset:32
	;; [unrolled: 1-line block ×3, first 2 shown]
	s_wait_dscnt 0x2
	v_add_f64_e32 v[17:18], v[1:2], v[5:6]
	v_add_f64_e32 v[19:20], v[3:4], v[7:8]
	s_wait_dscnt 0x1
	s_delay_alu instid0(VALU_DEP_2) | instskip(NEXT) | instid1(VALU_DEP_2)
	v_add_f64_e32 v[17:18], v[17:18], v[9:10]
	v_add_f64_e32 v[19:20], v[19:20], v[11:12]
	s_wait_dscnt 0x0
	s_delay_alu instid0(VALU_DEP_2) | instskip(NEXT) | instid1(VALU_DEP_2)
	v_add_f64_e32 v[25:26], v[17:18], v[13:14]
	v_add_f64_e32 v[27:28], v[19:20], v[15:16]
	ds_load_b128 v[17:20], v194 offset:64
	ds_load_b128 v[21:24], v194 offset:80
	s_wait_dscnt 0x1
	v_add_f64_e32 v[25:26], v[25:26], v[17:18]
	v_add_f64_e32 v[27:28], v[27:28], v[19:20]
	s_wait_dscnt 0x0
	s_delay_alu instid0(VALU_DEP_2) | instskip(NEXT) | instid1(VALU_DEP_2)
	v_add_f64_e32 v[33:34], v[25:26], v[21:22]
	v_add_f64_e32 v[35:36], v[27:28], v[23:24]
	ds_load_b128 v[25:28], v194 offset:96
	ds_load_b128 v[29:32], v194 offset:112
	s_wait_dscnt 0x1
	;; [unrolled: 9-line block ×3, first 2 shown]
	v_add_f64_e64 v[134:135], v[33:34], -v[37:38]
	v_add_f64_e64 v[136:137], v[35:36], -v[39:40]
	v_add_f64_e32 v[46:47], v[42:43], v[33:34]
	v_add_f64_e32 v[48:49], v[44:45], v[35:36]
	;; [unrolled: 1-line block ×4, first 2 shown]
	v_mul_f64_e32 v[132:133], s[38:39], v[134:135]
	v_mul_f64_e32 v[168:169], s[48:49], v[136:137]
	;; [unrolled: 1-line block ×7, first 2 shown]
	v_add_f64_e32 v[50:51], v[46:47], v[37:38]
	v_add_f64_e32 v[52:53], v[48:49], v[39:40]
	ds_load_b128 v[37:40], v194 offset:160
	ds_load_b128 v[46:49], v194 offset:176
	s_wait_dscnt 0x1
	v_add_f64_e32 v[33:34], v[29:30], v[37:38]
	v_add_f64_e32 v[35:36], v[31:32], v[39:40]
	v_add_f64_e64 v[158:159], v[29:30], -v[37:38]
	v_add_f64_e64 v[164:165], v[31:32], -v[39:40]
	s_wait_dscnt 0x0
	v_add_f64_e64 v[166:167], v[25:26], -v[46:47]
	v_add_f64_e64 v[170:171], v[27:28], -v[48:49]
	v_add_f64_e32 v[29:30], v[50:51], v[37:38]
	v_add_f64_e32 v[31:32], v[52:53], v[39:40]
	;; [unrolled: 1-line block ×4, first 2 shown]
	v_mul_f64_e32 v[192:193], s[34:35], v[158:159]
	v_mul_f64_e32 v[160:161], s[44:45], v[164:165]
	;; [unrolled: 1-line block ×10, first 2 shown]
	v_add_f64_e32 v[50:51], v[29:30], v[46:47]
	v_add_f64_e32 v[52:53], v[31:32], v[48:49]
	ds_load_b128 v[25:28], v194 offset:192
	ds_load_b128 v[29:32], v194 offset:208
	s_wait_dscnt 0x1
	v_add_f64_e32 v[46:47], v[21:22], v[25:26]
	v_add_f64_e32 v[48:49], v[23:24], v[27:28]
	v_add_f64_e64 v[174:175], v[21:22], -v[25:26]
	v_add_f64_e64 v[176:177], v[23:24], -v[27:28]
	s_wait_dscnt 0x0
	v_add_f64_e64 v[178:179], v[17:18], -v[29:30]
	v_add_f64_e64 v[180:181], v[19:20], -v[31:32]
	v_add_f64_e32 v[21:22], v[50:51], v[25:26]
	v_add_f64_e32 v[23:24], v[52:53], v[27:28]
	;; [unrolled: 1-line block ×4, first 2 shown]
	v_mul_f64_e32 v[152:153], s[54:55], v[174:175]
	v_mul_f64_e32 v[150:151], s[54:55], v[176:177]
	;; [unrolled: 1-line block ×4, first 2 shown]
	v_add_f64_e32 v[25:26], v[21:22], v[29:30]
	v_add_f64_e32 v[27:28], v[23:24], v[31:32]
	ds_load_b128 v[17:20], v194 offset:224
	ds_load_b128 v[21:24], v194 offset:240
	s_wait_dscnt 0x1
	v_add_f64_e32 v[54:55], v[13:14], v[17:18]
	v_add_f64_e32 v[56:57], v[15:16], v[19:20]
	v_add_f64_e64 v[182:183], v[13:14], -v[17:18]
	v_add_f64_e64 v[184:185], v[15:16], -v[19:20]
	s_wait_dscnt 0x0
	v_add_f64_e32 v[58:59], v[9:10], v[21:22]
	v_add_f64_e32 v[60:61], v[11:12], v[23:24]
	v_add_f64_e64 v[186:187], v[9:10], -v[21:22]
	v_add_f64_e64 v[190:191], v[11:12], -v[23:24]
	ds_load_b128 v[9:12], v194 offset:256
	v_add_f64_e32 v[13:14], v[25:26], v[17:18]
	v_add_f64_e32 v[15:16], v[27:28], v[19:20]
	s_wait_dscnt 0x0
	v_add_f64_e64 v[17:18], v[7:8], -v[11:12]
	v_add_f64_e32 v[19:20], v[5:6], v[9:10]
	v_mul_f64_e32 v[144:145], s[30:31], v[182:183]
	v_mul_f64_e32 v[142:143], s[30:31], v[184:185]
	;; [unrolled: 1-line block ×8, first 2 shown]
	v_add_f64_e32 v[13:14], v[13:14], v[21:22]
	v_add_f64_e32 v[15:16], v[15:16], v[23:24]
	;; [unrolled: 1-line block ×3, first 2 shown]
	v_add_f64_e64 v[23:24], v[5:6], -v[9:10]
	v_mul_f64_e32 v[25:26], s[28:29], v[17:18]
	v_mul_f64_e32 v[27:28], s[30:31], v[17:18]
	v_mul_f64_e32 v[29:30], s[34:35], v[17:18]
	v_add_f64_e32 v[223:224], v[13:14], v[9:10]
	v_add_f64_e32 v[225:226], v[15:16], v[11:12]
	v_mul_f64_e32 v[9:10], s[36:37], v[17:18]
	v_mul_f64_e32 v[11:12], s[42:43], v[17:18]
	;; [unrolled: 1-line block ×9, first 2 shown]
	v_fma_f64 v[74:75], v[19:20], s[10:11], -v[25:26]
	v_fma_f64 v[25:26], v[19:20], s[10:11], v[25:26]
	v_fma_f64 v[76:77], v[19:20], s[8:9], -v[27:28]
	v_fma_f64 v[27:28], v[19:20], s[8:9], v[27:28]
	;; [unrolled: 2-line block ×3, first 2 shown]
	v_mul_f64_e32 v[72:73], s[40:41], v[23:24]
	v_mul_f64_e32 v[86:87], s[34:35], v[23:24]
	v_fma_f64 v[31:32], v[19:20], s[26:27], -v[9:10]
	v_fma_f64 v[9:10], v[19:20], s[26:27], v[9:10]
	v_fma_f64 v[66:67], v[19:20], s[24:25], -v[11:12]
	v_fma_f64 v[11:12], v[19:20], s[24:25], v[11:12]
	;; [unrolled: 2-line block ×5, first 2 shown]
	v_mul_f64_e32 v[19:20], s[36:37], v[23:24]
	v_fma_f64 v[92:93], v[21:22], s[24:25], -v[62:63]
	v_fma_f64 v[96:97], v[21:22], s[18:19], -v[64:65]
	;; [unrolled: 1-line block ×3, first 2 shown]
	v_mul_f64_e32 v[23:24], s[38:39], v[23:24]
	v_fma_f64 v[110:111], v[21:22], s[8:9], v[84:85]
	v_fma_f64 v[84:85], v[21:22], s[8:9], -v[84:85]
	v_fma_f64 v[90:91], v[21:22], s[24:25], v[62:63]
	v_fma_f64 v[94:95], v[21:22], s[18:19], v[64:65]
	;; [unrolled: 1-line block ×3, first 2 shown]
	v_fma_f64 v[104:105], v[21:22], s[16:17], -v[72:73]
	v_fma_f64 v[106:107], v[21:22], s[10:11], v[78:79]
	v_fma_f64 v[112:113], v[21:22], s[6:7], v[86:87]
	v_fma_f64 v[86:87], v[21:22], s[6:7], -v[86:87]
	v_add_f64_e32 v[203:204], v[1:2], v[74:75]
	v_add_f64_e32 v[207:208], v[1:2], v[76:77]
	v_add_f64_e32 v[211:212], v[1:2], v[80:81]
	v_add_f64_e32 v[215:216], v[1:2], v[29:30]
	v_mul_f64_e32 v[72:73], s[38:39], v[158:159]
	v_add_f64_e32 v[5:6], v[1:2], v[9:10]
	v_add_f64_e32 v[9:10], v[1:2], v[66:67]
	v_mul_f64_e32 v[66:67], s[42:43], v[170:171]
	v_add_f64_e32 v[116:117], v[1:2], v[68:69]
	v_mul_f64_e32 v[68:69], s[42:43], v[166:167]
	v_add_f64_e32 v[195:196], v[1:2], v[70:71]
	v_add_f64_e32 v[199:200], v[1:2], v[15:16]
	;; [unrolled: 1-line block ×4, first 2 shown]
	v_fma_f64 v[88:89], v[21:22], s[26:27], v[19:20]
	v_fma_f64 v[19:20], v[21:22], s[26:27], -v[19:20]
	v_fma_f64 v[15:16], v[60:61], s[8:9], v[188:189]
	v_mul_f64_e32 v[70:71], s[38:39], v[164:165]
	v_fma_f64 v[114:115], v[21:22], s[4:5], v[23:24]
	v_fma_f64 v[21:22], v[21:22], s[4:5], -v[23:24]
	v_add_f64_e32 v[23:24], v[1:2], v[31:32]
	v_add_f64_e32 v[209:210], v[3:4], v[110:111]
	;; [unrolled: 1-line block ×8, first 2 shown]
	v_mul_f64_e32 v[102:103], s[50:51], v[184:185]
	v_mul_f64_e32 v[104:105], s[50:51], v[182:183]
	;; [unrolled: 1-line block ×4, first 2 shown]
	s_mov_b32 s51, 0x3fe58eea
	s_mov_b32 s50, s42
	scratch_store_b64 off, v[5:6], off      ; 8-byte Folded Spill
	v_add_f64_e32 v[31:32], v[3:4], v[88:89]
	v_add_f64_e32 v[5:6], v[3:4], v[19:20]
	;; [unrolled: 1-line block ×5, first 2 shown]
	s_wait_alu 0xfffe
	v_mul_f64_e32 v[114:115], s[50:51], v[176:177]
	v_mul_f64_e32 v[21:22], s[38:39], v[190:191]
	v_add_f64_e32 v[15:16], v[15:16], v[118:119]
	v_mul_f64_e32 v[118:119], s[36:37], v[170:171]
	v_fma_f64 v[17:18], v[54:55], s[4:5], -v[102:103]
	scratch_store_b64 off, v[5:6], off offset:8 ; 8-byte Folded Spill
	v_add_f64_e32 v[5:6], v[1:2], v[11:12]
	scratch_store_b64 off, v[5:6], off offset:136 ; 8-byte Folded Spill
	v_add_f64_e32 v[5:6], v[3:4], v[92:93]
	;; [unrolled: 2-line block ×3, first 2 shown]
	v_fma_f64 v[13:14], v[54:55], s[8:9], -v[142:143]
	scratch_store_b64 off, v[5:6], off offset:48 ; 8-byte Folded Spill
	v_add_f64_e32 v[5:6], v[3:4], v[96:97]
	scratch_store_b64 off, v[5:6], off offset:40 ; 8-byte Folded Spill
	v_add_f64_e32 v[5:6], v[1:2], v[25:26]
	v_mul_f64_e32 v[25:26], s[52:53], v[184:185]
	scratch_store_b64 off, v[5:6], off offset:152 ; 8-byte Folded Spill
	v_add_f64_e32 v[5:6], v[3:4], v[108:109]
	scratch_store_b64 off, v[5:6], off offset:144 ; 8-byte Folded Spill
	v_add_f64_e32 v[5:6], v[1:2], v[27:28]
	v_mul_f64_e32 v[0:1], s[42:43], v[190:191]
	v_fma_f64 v[27:28], v[54:55], s[10:11], -v[25:26]
	v_fma_f64 v[25:26], v[54:55], s[10:11], v[25:26]
	scratch_store_b64 off, v[5:6], off offset:168 ; 8-byte Folded Spill
	v_add_f64_e32 v[5:6], v[3:4], v[84:85]
	v_mul_f64_e32 v[3:4], s[42:43], v[186:187]
	scratch_store_b64 off, v[0:1], off offset:16 ; 8-byte Folded Spill
	v_fma_f64 v[1:2], v[58:59], s[24:25], -v[0:1]
	scratch_store_b64 off, v[5:6], off offset:160 ; 8-byte Folded Spill
	v_mul_f64_e32 v[5:6], s[46:47], v[184:185]
	scratch_store_b64 off, v[3:4], off offset:24 ; 8-byte Folded Spill
	v_add_f64_e32 v[1:2], v[1:2], v[23:24]
	v_fma_f64 v[3:4], v[60:61], s[24:25], v[3:4]
	v_mul_f64_e32 v[23:24], s[38:39], v[186:187]
	scratch_store_b64 off, v[5:6], off offset:32 ; 8-byte Folded Spill
	v_fma_f64 v[11:12], v[54:55], s[18:19], -v[5:6]
	v_mul_f64_e32 v[5:6], s[46:47], v[182:183]
	v_add_f64_e32 v[3:4], v[3:4], v[31:32]
	s_delay_alu instid0(VALU_DEP_3) | instskip(SKIP_3) | instid1(VALU_DEP_2)
	v_add_f64_e32 v[1:2], v[11:12], v[1:2]
	scratch_store_b64 off, v[5:6], off offset:56 ; 8-byte Folded Spill
	v_fma_f64 v[11:12], v[56:57], s[18:19], v[5:6]
	v_mul_f64_e32 v[5:6], s[40:41], v[180:181]
	v_add_f64_e32 v[3:4], v[11:12], v[3:4]
	scratch_store_b64 off, v[5:6], off offset:64 ; 8-byte Folded Spill
	v_fma_f64 v[11:12], v[50:51], s[16:17], -v[5:6]
	v_mul_f64_e32 v[5:6], s[40:41], v[178:179]
	s_delay_alu instid0(VALU_DEP_2) | instskip(SKIP_3) | instid1(VALU_DEP_2)
	v_add_f64_e32 v[1:2], v[11:12], v[1:2]
	scratch_store_b64 off, v[5:6], off offset:72 ; 8-byte Folded Spill
	v_fma_f64 v[11:12], v[52:53], s[16:17], v[5:6]
	v_mul_f64_e32 v[5:6], s[28:29], v[176:177]
	v_add_f64_e32 v[3:4], v[11:12], v[3:4]
	scratch_store_b64 off, v[5:6], off offset:80 ; 8-byte Folded Spill
	v_fma_f64 v[11:12], v[46:47], s[10:11], -v[5:6]
	v_mul_f64_e32 v[5:6], s[28:29], v[174:175]
	s_delay_alu instid0(VALU_DEP_2) | instskip(SKIP_3) | instid1(VALU_DEP_2)
	;; [unrolled: 9-line block ×3, first 2 shown]
	v_add_f64_e32 v[1:2], v[11:12], v[1:2]
	scratch_store_b64 off, v[5:6], off offset:104 ; 8-byte Folded Spill
	v_fma_f64 v[11:12], v[39:40], s[8:9], v[5:6]
	v_mul_f64_e32 v[5:6], s[34:35], v[164:165]
	v_add_f64_e32 v[3:4], v[11:12], v[3:4]
	s_delay_alu instid0(VALU_DEP_2)
	v_fma_f64 v[11:12], v[33:34], s[6:7], -v[5:6]
	scratch_store_b64 off, v[5:6], off offset:112 ; 8-byte Folded Spill
	v_mul_f64_e32 v[5:6], s[38:39], v[136:137]
	v_add_f64_e32 v[1:2], v[11:12], v[1:2]
	v_fma_f64 v[11:12], v[35:36], s[6:7], v[192:193]
	scratch_store_b64 off, v[5:6], off offset:120 ; 8-byte Folded Spill
	v_add_f64_e32 v[3:4], v[11:12], v[3:4]
	v_fma_f64 v[11:12], v[42:43], s[4:5], -v[5:6]
	v_mul_f64_e32 v[6:7], s[38:39], v[166:167]
	s_delay_alu instid0(VALU_DEP_2) | instskip(SKIP_2) | instid1(VALU_DEP_2)
	v_add_f64_e32 v[106:107], v[11:12], v[1:2]
	v_fma_f64 v[11:12], v[44:45], s[4:5], v[132:133]
	v_mul_f64_e32 v[0:1], s[28:29], v[136:137]
	v_add_f64_e32 v[108:109], v[11:12], v[3:4]
	v_fma_f64 v[11:12], v[58:59], s[16:17], -v[138:139]
	s_delay_alu instid0(VALU_DEP_1) | instskip(SKIP_1) | instid1(VALU_DEP_2)
	v_add_f64_e32 v[9:10], v[11:12], v[9:10]
	v_fma_f64 v[11:12], v[60:61], s[16:17], v[140:141]
	v_add_f64_e32 v[9:10], v[13:14], v[9:10]
	s_delay_alu instid0(VALU_DEP_2) | instskip(SKIP_3) | instid1(VALU_DEP_3)
	v_add_f64_e32 v[11:12], v[11:12], v[19:20]
	v_fma_f64 v[13:14], v[56:57], s[8:9], v[144:145]
	v_fma_f64 v[19:20], v[60:61], s[4:5], v[23:24]
	v_fma_f64 v[23:24], v[60:61], s[4:5], -v[23:24]
	v_add_f64_e32 v[11:12], v[13:14], v[11:12]
	v_fma_f64 v[13:14], v[50:51], s[4:5], -v[146:147]
	s_delay_alu instid0(VALU_DEP_4) | instskip(NEXT) | instid1(VALU_DEP_4)
	v_add_f64_e32 v[19:20], v[19:20], v[197:198]
	v_add_f64_e32 v[23:24], v[23:24], v[201:202]
	s_delay_alu instid0(VALU_DEP_3) | instskip(SKIP_1) | instid1(VALU_DEP_1)
	v_add_f64_e32 v[9:10], v[13:14], v[9:10]
	v_fma_f64 v[13:14], v[52:53], s[4:5], v[148:149]
	v_add_f64_e32 v[11:12], v[13:14], v[11:12]
	v_fma_f64 v[13:14], v[46:47], s[6:7], -v[150:151]
	s_delay_alu instid0(VALU_DEP_1) | instskip(SKIP_1) | instid1(VALU_DEP_1)
	v_add_f64_e32 v[9:10], v[13:14], v[9:10]
	v_fma_f64 v[13:14], v[48:49], s[6:7], v[152:153]
	v_add_f64_e32 v[11:12], v[13:14], v[11:12]
	v_fma_f64 v[13:14], v[37:38], s[10:11], -v[154:155]
	s_delay_alu instid0(VALU_DEP_1) | instskip(SKIP_1) | instid1(VALU_DEP_1)
	;; [unrolled: 5-line block ×3, first 2 shown]
	v_add_f64_e32 v[9:10], v[13:14], v[9:10]
	v_fma_f64 v[13:14], v[35:36], s[18:19], v[162:163]
	v_add_f64_e32 v[11:12], v[13:14], v[11:12]
	v_fma_f64 v[13:14], v[42:43], s[26:27], -v[168:169]
	s_delay_alu instid0(VALU_DEP_1) | instskip(SKIP_2) | instid1(VALU_DEP_2)
	v_add_f64_e32 v[82:83], v[13:14], v[9:10]
	v_fma_f64 v[13:14], v[44:45], s[26:27], v[172:173]
	v_mul_f64_e32 v[8:9], s[38:39], v[170:171]
	v_add_f64_e32 v[84:85], v[13:14], v[11:12]
	v_fma_f64 v[13:14], v[58:59], s[8:9], -v[128:129]
	s_delay_alu instid0(VALU_DEP_1) | instskip(SKIP_1) | instid1(VALU_DEP_2)
	v_add_f64_e32 v[13:14], v[13:14], v[116:117]
	v_mul_f64_e32 v[116:117], s[50:51], v[174:175]
	v_add_f64_e32 v[13:14], v[17:18], v[13:14]
	v_fma_f64 v[17:18], v[56:57], s[4:5], v[104:105]
	s_delay_alu instid0(VALU_DEP_1) | instskip(SKIP_1) | instid1(VALU_DEP_1)
	v_add_f64_e32 v[15:16], v[17:18], v[15:16]
	v_fma_f64 v[17:18], v[50:51], s[10:11], -v[110:111]
	v_add_f64_e32 v[13:14], v[17:18], v[13:14]
	v_fma_f64 v[17:18], v[52:53], s[10:11], v[112:113]
	s_delay_alu instid0(VALU_DEP_1) | instskip(SKIP_1) | instid1(VALU_DEP_1)
	v_add_f64_e32 v[15:16], v[17:18], v[15:16]
	v_fma_f64 v[17:18], v[46:47], s[24:25], -v[114:115]
	;; [unrolled: 5-line block ×5, first 2 shown]
	v_add_f64_e32 v[78:79], v[17:18], v[13:14]
	v_fma_f64 v[17:18], v[44:45], s[6:7], v[130:131]
	s_delay_alu instid0(VALU_DEP_1) | instskip(SKIP_3) | instid1(VALU_DEP_3)
	v_add_f64_e32 v[80:81], v[17:18], v[15:16]
	v_fma_f64 v[17:18], v[58:59], s[4:5], -v[21:22]
	v_fma_f64 v[21:22], v[58:59], s[4:5], v[21:22]
	v_fma_f64 v[15:16], v[37:38], s[24:25], -v[66:67]
	v_add_f64_e32 v[17:18], v[17:18], v[195:196]
	s_delay_alu instid0(VALU_DEP_3) | instskip(SKIP_1) | instid1(VALU_DEP_3)
	v_add_f64_e32 v[21:22], v[21:22], v[199:200]
	v_mul_f64_e32 v[199:200], s[44:45], v[186:187]
	v_add_f64_e32 v[17:18], v[27:28], v[17:18]
	v_mul_f64_e32 v[27:28], s[52:53], v[182:183]
	s_delay_alu instid0(VALU_DEP_4) | instskip(NEXT) | instid1(VALU_DEP_4)
	v_add_f64_e32 v[21:22], v[25:26], v[21:22]
	v_fma_f64 v[201:202], v[60:61], s[18:19], v[199:200]
	s_delay_alu instid0(VALU_DEP_3) | instskip(SKIP_1) | instid1(VALU_DEP_3)
	v_fma_f64 v[29:30], v[56:57], s[10:11], v[27:28]
	v_fma_f64 v[25:26], v[56:57], s[10:11], -v[27:28]
	v_add_f64_e32 v[201:202], v[201:202], v[213:214]
	s_delay_alu instid0(VALU_DEP_3) | instskip(SKIP_1) | instid1(VALU_DEP_4)
	v_add_f64_e32 v[19:20], v[29:30], v[19:20]
	v_mul_f64_e32 v[29:30], s[48:49], v[180:181]
	v_add_f64_e32 v[23:24], v[25:26], v[23:24]
	s_delay_alu instid0(VALU_DEP_2) | instskip(SKIP_1) | instid1(VALU_DEP_2)
	v_fma_f64 v[31:32], v[50:51], s[26:27], -v[29:30]
	v_fma_f64 v[25:26], v[50:51], s[26:27], v[29:30]
	v_add_f64_e32 v[17:18], v[31:32], v[17:18]
	v_mul_f64_e32 v[31:32], s[48:49], v[178:179]
	s_delay_alu instid0(VALU_DEP_3) | instskip(NEXT) | instid1(VALU_DEP_2)
	v_add_f64_e32 v[21:22], v[25:26], v[21:22]
	v_fma_f64 v[195:196], v[52:53], s[26:27], v[31:32]
	v_fma_f64 v[25:26], v[52:53], s[26:27], -v[31:32]
	s_delay_alu instid0(VALU_DEP_2) | instskip(SKIP_1) | instid1(VALU_DEP_3)
	v_add_f64_e32 v[19:20], v[195:196], v[19:20]
	v_mul_f64_e32 v[195:196], s[46:47], v[176:177]
	v_add_f64_e32 v[23:24], v[25:26], v[23:24]
	s_delay_alu instid0(VALU_DEP_2) | instskip(SKIP_1) | instid1(VALU_DEP_2)
	v_fma_f64 v[197:198], v[46:47], s[18:19], -v[195:196]
	v_fma_f64 v[25:26], v[46:47], s[18:19], v[195:196]
	v_add_f64_e32 v[17:18], v[197:198], v[17:18]
	v_mul_f64_e32 v[197:198], s[46:47], v[174:175]
	s_delay_alu instid0(VALU_DEP_3) | instskip(NEXT) | instid1(VALU_DEP_2)
	v_add_f64_e32 v[21:22], v[25:26], v[21:22]
	v_fma_f64 v[227:228], v[48:49], s[18:19], v[197:198]
	v_fma_f64 v[25:26], v[48:49], s[18:19], -v[197:198]
	s_delay_alu instid0(VALU_DEP_2) | instskip(SKIP_1) | instid1(VALU_DEP_3)
	v_add_f64_e32 v[19:20], v[227:228], v[19:20]
	v_mul_f64_e32 v[227:228], s[34:35], v[170:171]
	v_add_f64_e32 v[23:24], v[25:26], v[23:24]
	s_delay_alu instid0(VALU_DEP_2) | instskip(SKIP_2) | instid1(VALU_DEP_3)
	v_fma_f64 v[229:230], v[37:38], s[6:7], -v[227:228]
	v_fma_f64 v[25:26], v[37:38], s[6:7], v[227:228]
	v_mul_f64_e32 v[227:228], s[54:55], v[190:191]
	v_add_f64_e32 v[17:18], v[229:230], v[17:18]
	v_mul_f64_e32 v[229:230], s[34:35], v[166:167]
	s_delay_alu instid0(VALU_DEP_4) | instskip(NEXT) | instid1(VALU_DEP_2)
	v_add_f64_e32 v[21:22], v[25:26], v[21:22]
	v_fma_f64 v[231:232], v[39:40], s[6:7], v[229:230]
	v_fma_f64 v[25:26], v[39:40], s[6:7], -v[229:230]
	v_mul_f64_e32 v[229:230], s[50:51], v[182:183]
	s_delay_alu instid0(VALU_DEP_3) | instskip(SKIP_1) | instid1(VALU_DEP_4)
	v_add_f64_e32 v[19:20], v[231:232], v[19:20]
	v_mul_f64_e32 v[231:232], s[56:57], v[164:165]
	v_add_f64_e32 v[23:24], v[25:26], v[23:24]
	s_delay_alu instid0(VALU_DEP_2) | instskip(SKIP_2) | instid1(VALU_DEP_3)
	v_fma_f64 v[233:234], v[33:34], s[8:9], -v[231:232]
	v_fma_f64 v[25:26], v[33:34], s[8:9], v[231:232]
	v_mul_f64_e32 v[231:232], s[46:47], v[180:181]
	v_add_f64_e32 v[17:18], v[233:234], v[17:18]
	v_mul_f64_e32 v[233:234], s[56:57], v[158:159]
	s_delay_alu instid0(VALU_DEP_4) | instskip(NEXT) | instid1(VALU_DEP_2)
	v_add_f64_e32 v[21:22], v[25:26], v[21:22]
	v_fma_f64 v[235:236], v[35:36], s[8:9], v[233:234]
	v_fma_f64 v[25:26], v[35:36], s[8:9], -v[233:234]
	v_mul_f64_e32 v[233:234], s[46:47], v[178:179]
	s_mov_b32 s47, 0x3fefdd0d
	s_mov_b32 s46, s40
	s_wait_alu 0xfffe
	v_mul_f64_e32 v[241:242], s[46:47], v[166:167]
	v_mul_f64_e32 v[62:63], s[46:47], v[176:177]
	;; [unrolled: 1-line block ×3, first 2 shown]
	v_add_f64_e32 v[19:20], v[235:236], v[19:20]
	v_mul_f64_e32 v[235:236], s[50:51], v[136:137]
	v_add_f64_e32 v[23:24], v[25:26], v[23:24]
	s_delay_alu instid0(VALU_DEP_4) | instskip(NEXT) | instid1(VALU_DEP_3)
	v_fma_f64 v[11:12], v[48:49], s[16:17], v[64:65]
	v_fma_f64 v[237:238], v[42:43], s[24:25], -v[235:236]
	v_fma_f64 v[25:26], v[42:43], s[24:25], v[235:236]
	v_mul_f64_e32 v[235:236], s[38:39], v[176:177]
	s_delay_alu instid0(VALU_DEP_3) | instskip(SKIP_1) | instid1(VALU_DEP_4)
	v_add_f64_e32 v[86:87], v[237:238], v[17:18]
	v_mul_f64_e32 v[237:238], s[50:51], v[134:135]
	v_add_f64_e32 v[94:95], v[25:26], v[21:22]
	v_fma_f64 v[25:26], v[58:59], s[6:7], -v[227:228]
	v_mul_f64_e32 v[21:22], s[34:35], v[180:181]
	s_delay_alu instid0(VALU_DEP_4) | instskip(SKIP_1) | instid1(VALU_DEP_4)
	v_fma_f64 v[27:28], v[44:45], s[24:25], -v[237:238]
	v_fma_f64 v[239:240], v[44:45], s[24:25], v[237:238]
	v_add_f64_e32 v[25:26], v[25:26], v[203:204]
	v_mul_f64_e32 v[203:204], s[54:55], v[186:187]
	v_mul_f64_e32 v[237:238], s[38:39], v[174:175]
	v_fma_f64 v[3:4], v[50:51], s[6:7], -v[21:22]
	v_add_f64_e32 v[96:97], v[27:28], v[23:24]
	v_add_f64_e32 v[88:89], v[239:240], v[19:20]
	v_mul_f64_e32 v[239:240], s[46:47], v[170:171]
	v_fma_f64 v[27:28], v[60:61], s[6:7], v[203:204]
	v_fma_f64 v[19:20], v[33:34], s[4:5], -v[70:71]
	s_delay_alu instid0(VALU_DEP_2) | instskip(SKIP_1) | instid1(VALU_DEP_1)
	v_add_f64_e32 v[27:28], v[27:28], v[205:206]
	v_mul_f64_e32 v[205:206], s[50:51], v[184:185]
	v_fma_f64 v[29:30], v[54:55], s[24:25], -v[205:206]
	s_delay_alu instid0(VALU_DEP_1) | instskip(SKIP_1) | instid1(VALU_DEP_1)
	v_add_f64_e32 v[25:26], v[29:30], v[25:26]
	v_fma_f64 v[29:30], v[56:57], s[24:25], v[229:230]
	v_add_f64_e32 v[27:28], v[29:30], v[27:28]
	v_fma_f64 v[29:30], v[50:51], s[18:19], -v[231:232]
	s_delay_alu instid0(VALU_DEP_1) | instskip(SKIP_1) | instid1(VALU_DEP_1)
	v_add_f64_e32 v[25:26], v[29:30], v[25:26]
	v_fma_f64 v[29:30], v[52:53], s[18:19], v[233:234]
	v_add_f64_e32 v[27:28], v[29:30], v[27:28]
	;; [unrolled: 5-line block ×5, first 2 shown]
	v_fma_f64 v[29:30], v[42:43], s[8:9], -v[247:248]
	s_delay_alu instid0(VALU_DEP_1) | instskip(SKIP_2) | instid1(VALU_DEP_2)
	v_add_f64_e32 v[90:91], v[29:30], v[25:26]
	v_fma_f64 v[29:30], v[44:45], s[8:9], v[249:250]
	v_mul_f64_e32 v[25:26], s[34:35], v[178:179]
	v_add_f64_e32 v[92:93], v[29:30], v[27:28]
	v_fma_f64 v[29:30], v[58:59], s[10:11], -v[251:252]
	s_delay_alu instid0(VALU_DEP_1) | instskip(SKIP_1) | instid1(VALU_DEP_1)
	v_add_f64_e32 v[29:30], v[29:30], v[207:208]
	v_mul_f64_e32 v[207:208], s[52:53], v[186:187]
	v_fma_f64 v[31:32], v[60:61], s[10:11], v[207:208]
	s_delay_alu instid0(VALU_DEP_1) | instskip(SKIP_1) | instid1(VALU_DEP_1)
	v_add_f64_e32 v[31:32], v[31:32], v[209:210]
	v_mul_f64_e32 v[209:210], s[36:37], v[184:185]
	v_fma_f64 v[195:196], v[54:55], s[26:27], -v[209:210]
	s_delay_alu instid0(VALU_DEP_1) | instskip(SKIP_1) | instid1(VALU_DEP_2)
	v_add_f64_e32 v[29:30], v[195:196], v[29:30]
	v_fma_f64 v[195:196], v[56:57], s[26:27], v[253:254]
	v_add_f64_e32 v[3:4], v[3:4], v[29:30]
	s_delay_alu instid0(VALU_DEP_2) | instskip(SKIP_2) | instid1(VALU_DEP_2)
	v_add_f64_e32 v[31:32], v[195:196], v[31:32]
	v_fma_f64 v[29:30], v[52:53], s[6:7], v[25:26]
	v_mul_f64_e32 v[195:196], s[44:45], v[136:137]
	v_add_f64_e32 v[29:30], v[29:30], v[31:32]
	v_fma_f64 v[31:32], v[46:47], s[16:17], -v[62:63]
	s_delay_alu instid0(VALU_DEP_2) | instskip(NEXT) | instid1(VALU_DEP_2)
	v_add_f64_e32 v[11:12], v[11:12], v[29:30]
	v_add_f64_e32 v[3:4], v[31:32], v[3:4]
	v_fma_f64 v[29:30], v[39:40], s[24:25], v[68:69]
	s_delay_alu instid0(VALU_DEP_2) | instskip(NEXT) | instid1(VALU_DEP_2)
	v_add_f64_e32 v[3:4], v[15:16], v[3:4]
	v_add_f64_e32 v[11:12], v[29:30], v[11:12]
	v_fma_f64 v[29:30], v[35:36], s[4:5], v[72:73]
	v_mul_f64_e32 v[16:17], s[40:41], v[184:185]
	v_mul_f64_e32 v[14:15], s[56:57], v[180:181]
	v_add_f64_e32 v[3:4], v[19:20], v[3:4]
	v_mul_f64_e32 v[18:19], s[44:45], v[190:191]
	v_add_f64_e32 v[11:12], v[29:30], v[11:12]
	v_fma_f64 v[29:30], v[42:43], s[18:19], -v[195:196]
	v_fma_f64 v[23:24], v[54:55], s[16:17], -v[16:17]
	v_fma_f64 v[27:28], v[50:51], s[8:9], -v[14:15]
	v_fma_f64 v[16:17], v[54:55], s[16:17], v[16:17]
	v_fma_f64 v[14:15], v[50:51], s[8:9], v[14:15]
	v_fma_f64 v[197:198], v[58:59], s[18:19], -v[18:19]
	v_fma_f64 v[18:19], v[58:59], s[18:19], v[18:19]
	v_add_f64_e32 v[74:75], v[29:30], v[3:4]
	v_mul_f64_e32 v[29:30], s[44:45], v[134:135]
	v_mul_f64_e32 v[4:5], s[50:51], v[164:165]
	;; [unrolled: 1-line block ×4, first 2 shown]
	v_add_f64_e32 v[197:198], v[197:198], v[211:212]
	v_add_f64_e32 v[18:19], v[18:19], v[215:216]
	v_fma_f64 v[31:32], v[44:45], s[18:19], v[29:30]
	s_delay_alu instid0(VALU_DEP_3) | instskip(SKIP_1) | instid1(VALU_DEP_4)
	v_add_f64_e32 v[23:24], v[23:24], v[197:198]
	v_mul_f64_e32 v[197:198], s[40:41], v[182:183]
	v_add_f64_e32 v[16:17], v[16:17], v[18:19]
	s_delay_alu instid0(VALU_DEP_4)
	v_add_f64_e32 v[76:77], v[31:32], v[11:12]
	v_mul_f64_e32 v[12:13], s[36:37], v[176:177]
	v_mul_f64_e32 v[10:11], s[36:37], v[174:175]
	v_fma_f64 v[31:32], v[42:43], s[10:11], -v[0:1]
	v_fma_f64 v[0:1], v[42:43], s[10:11], v[0:1]
	v_add_f64_e32 v[23:24], v[27:28], v[23:24]
	v_fma_f64 v[211:212], v[56:57], s[16:17], v[197:198]
	v_mul_f64_e32 v[27:28], s[56:57], v[178:179]
	v_fma_f64 v[18:19], v[56:57], s[16:17], -v[197:198]
	v_add_f64_e32 v[14:15], v[14:15], v[16:17]
	s_delay_alu instid0(VALU_DEP_4) | instskip(NEXT) | instid1(VALU_DEP_4)
	v_add_f64_e32 v[201:202], v[211:212], v[201:202]
	v_fma_f64 v[211:212], v[52:53], s[8:9], v[27:28]
	v_fma_f64 v[16:17], v[52:53], s[8:9], -v[27:28]
	s_delay_alu instid0(VALU_DEP_2) | instskip(SKIP_2) | instid1(VALU_DEP_2)
	v_add_f64_e32 v[201:202], v[211:212], v[201:202]
	v_fma_f64 v[211:212], v[46:47], s[26:27], -v[12:13]
	v_fma_f64 v[12:13], v[46:47], s[26:27], v[12:13]
	v_add_f64_e32 v[23:24], v[211:212], v[23:24]
	v_fma_f64 v[211:212], v[48:49], s[26:27], v[10:11]
	s_delay_alu instid0(VALU_DEP_3) | instskip(SKIP_1) | instid1(VALU_DEP_3)
	v_add_f64_e32 v[12:13], v[12:13], v[14:15]
	v_fma_f64 v[10:11], v[48:49], s[26:27], -v[10:11]
	v_add_f64_e32 v[201:202], v[211:212], v[201:202]
	v_fma_f64 v[211:212], v[37:38], s[4:5], -v[8:9]
	v_fma_f64 v[8:9], v[37:38], s[4:5], v[8:9]
	s_delay_alu instid0(VALU_DEP_2) | instskip(SKIP_1) | instid1(VALU_DEP_3)
	v_add_f64_e32 v[23:24], v[211:212], v[23:24]
	v_fma_f64 v[211:212], v[39:40], s[4:5], v[6:7]
	v_add_f64_e32 v[8:9], v[8:9], v[12:13]
	v_fma_f64 v[6:7], v[39:40], s[4:5], -v[6:7]
	s_delay_alu instid0(VALU_DEP_3) | instskip(SKIP_2) | instid1(VALU_DEP_2)
	v_add_f64_e32 v[201:202], v[211:212], v[201:202]
	v_fma_f64 v[211:212], v[33:34], s[24:25], -v[4:5]
	v_fma_f64 v[4:5], v[33:34], s[24:25], v[4:5]
	v_add_f64_e32 v[23:24], v[211:212], v[23:24]
	v_fma_f64 v[211:212], v[35:36], s[24:25], v[2:3]
	s_delay_alu instid0(VALU_DEP_3) | instskip(SKIP_2) | instid1(VALU_DEP_4)
	v_add_f64_e32 v[4:5], v[4:5], v[8:9]
	v_fma_f64 v[2:3], v[35:36], s[24:25], -v[2:3]
	v_mul_f64_e32 v[8:9], s[34:35], v[184:185]
	v_add_f64_e32 v[201:202], v[211:212], v[201:202]
	v_add_f64_e32 v[211:212], v[31:32], v[23:24]
	v_mul_f64_e32 v[23:24], s[28:29], v[134:135]
	s_delay_alu instid0(VALU_DEP_1) | instskip(NEXT) | instid1(VALU_DEP_1)
	v_fma_f64 v[31:32], v[44:45], s[10:11], v[23:24]
	v_add_f64_e32 v[213:214], v[31:32], v[201:202]
	v_fma_f64 v[31:32], v[60:61], s[18:19], -v[199:200]
	v_add_f64_e32 v[199:200], v[0:1], v[4:5]
	v_mul_f64_e32 v[0:1], s[48:49], v[190:191]
	v_mul_f64_e32 v[4:5], s[48:49], v[186:187]
	s_delay_alu instid0(VALU_DEP_4) | instskip(NEXT) | instid1(VALU_DEP_1)
	v_add_f64_e32 v[31:32], v[31:32], v[217:218]
	v_add_f64_e32 v[18:19], v[18:19], v[31:32]
	s_delay_alu instid0(VALU_DEP_1) | instskip(NEXT) | instid1(VALU_DEP_1)
	v_add_f64_e32 v[16:17], v[16:17], v[18:19]
	v_add_f64_e32 v[10:11], v[10:11], v[16:17]
	s_delay_alu instid0(VALU_DEP_1) | instskip(SKIP_1) | instid1(VALU_DEP_2)
	v_add_f64_e32 v[6:7], v[6:7], v[10:11]
	v_fma_f64 v[10:11], v[54:55], s[6:7], -v[8:9]
	v_add_f64_e32 v[2:3], v[2:3], v[6:7]
	v_fma_f64 v[6:7], v[44:45], s[10:11], -v[23:24]
	s_delay_alu instid0(VALU_DEP_1) | instskip(SKIP_3) | instid1(VALU_DEP_3)
	v_add_f64_e32 v[201:202], v[6:7], v[2:3]
	v_fma_f64 v[2:3], v[58:59], s[26:27], -v[0:1]
	v_fma_f64 v[6:7], v[60:61], s[26:27], v[4:5]
	v_fma_f64 v[0:1], v[58:59], s[26:27], v[0:1]
	v_add_f64_e32 v[2:3], v[2:3], v[219:220]
	s_delay_alu instid0(VALU_DEP_3) | instskip(NEXT) | instid1(VALU_DEP_3)
	v_add_f64_e32 v[6:7], v[6:7], v[221:222]
	v_add_f64_e32 v[0:1], v[0:1], v[98:99]
	s_delay_alu instid0(VALU_DEP_3) | instskip(SKIP_1) | instid1(VALU_DEP_1)
	v_add_f64_e32 v[2:3], v[10:11], v[2:3]
	v_mul_f64_e32 v[10:11], s[34:35], v[182:183]
	v_fma_f64 v[12:13], v[56:57], s[6:7], v[10:11]
	s_delay_alu instid0(VALU_DEP_1) | instskip(SKIP_1) | instid1(VALU_DEP_1)
	v_add_f64_e32 v[6:7], v[12:13], v[6:7]
	v_mul_f64_e32 v[12:13], s[50:51], v[180:181]
	v_fma_f64 v[14:15], v[50:51], s[24:25], -v[12:13]
	s_delay_alu instid0(VALU_DEP_1) | instskip(SKIP_1) | instid1(VALU_DEP_1)
	v_add_f64_e32 v[2:3], v[14:15], v[2:3]
	v_mul_f64_e32 v[14:15], s[50:51], v[178:179]
	v_fma_f64 v[16:17], v[52:53], s[24:25], v[14:15]
	s_delay_alu instid0(VALU_DEP_1) | instskip(SKIP_1) | instid1(VALU_DEP_1)
	v_add_f64_e32 v[6:7], v[16:17], v[6:7]
	v_mul_f64_e32 v[16:17], s[30:31], v[176:177]
	v_fma_f64 v[18:19], v[46:47], s[8:9], -v[16:17]
	s_delay_alu instid0(VALU_DEP_1) | instskip(SKIP_1) | instid1(VALU_DEP_1)
	v_add_f64_e32 v[2:3], v[18:19], v[2:3]
	v_mul_f64_e32 v[18:19], s[30:31], v[174:175]
	v_fma_f64 v[23:24], v[48:49], s[8:9], v[18:19]
	s_delay_alu instid0(VALU_DEP_1) | instskip(SKIP_1) | instid1(VALU_DEP_1)
	v_add_f64_e32 v[6:7], v[23:24], v[6:7]
	v_mul_f64_e32 v[23:24], s[44:45], v[170:171]
	v_fma_f64 v[27:28], v[37:38], s[18:19], -v[23:24]
	s_delay_alu instid0(VALU_DEP_1) | instskip(SKIP_2) | instid1(VALU_DEP_2)
	v_add_f64_e32 v[2:3], v[27:28], v[2:3]
	v_mul_f64_e32 v[27:28], s[44:45], v[166:167]
	v_mul_f64_e32 v[166:167], s[46:47], v[134:135]
	v_fma_f64 v[31:32], v[39:40], s[18:19], v[27:28]
	s_delay_alu instid0(VALU_DEP_1) | instskip(SKIP_1) | instid1(VALU_DEP_1)
	v_add_f64_e32 v[6:7], v[31:32], v[6:7]
	v_mul_f64_e32 v[31:32], s[28:29], v[164:165]
	v_fma_f64 v[164:165], v[33:34], s[10:11], -v[31:32]
	s_delay_alu instid0(VALU_DEP_1) | instskip(SKIP_1) | instid1(VALU_DEP_1)
	v_add_f64_e32 v[2:3], v[164:165], v[2:3]
	v_fma_f64 v[164:165], v[35:36], s[10:11], v[158:159]
	v_add_f64_e32 v[6:7], v[164:165], v[6:7]
	v_mul_f64_e32 v[164:165], s[46:47], v[136:137]
	s_delay_alu instid0(VALU_DEP_1) | instskip(NEXT) | instid1(VALU_DEP_1)
	v_fma_f64 v[134:135], v[42:43], s[16:17], -v[164:165]
	v_add_f64_e32 v[134:135], v[134:135], v[2:3]
	v_fma_f64 v[2:3], v[44:45], s[16:17], v[166:167]
	s_delay_alu instid0(VALU_DEP_1) | instskip(SKIP_3) | instid1(VALU_DEP_3)
	v_add_f64_e32 v[136:137], v[2:3], v[6:7]
	v_fma_f64 v[2:3], v[60:61], s[26:27], -v[4:5]
	v_fma_f64 v[4:5], v[54:55], s[6:7], v[8:9]
	v_fma_f64 v[6:7], v[44:45], s[16:17], -v[166:167]
	v_add_f64_e32 v[2:3], v[2:3], v[100:101]
	s_delay_alu instid0(VALU_DEP_3) | instskip(SKIP_1) | instid1(VALU_DEP_1)
	v_add_f64_e32 v[0:1], v[4:5], v[0:1]
	v_fma_f64 v[4:5], v[56:57], s[6:7], -v[10:11]
	v_add_f64_e32 v[2:3], v[4:5], v[2:3]
	v_fma_f64 v[4:5], v[50:51], s[24:25], v[12:13]
	s_delay_alu instid0(VALU_DEP_1) | instskip(SKIP_1) | instid1(VALU_DEP_1)
	v_add_f64_e32 v[0:1], v[4:5], v[0:1]
	v_fma_f64 v[4:5], v[52:53], s[24:25], -v[14:15]
	v_add_f64_e32 v[2:3], v[4:5], v[2:3]
	v_fma_f64 v[4:5], v[46:47], s[8:9], v[16:17]
	s_delay_alu instid0(VALU_DEP_1) | instskip(SKIP_1) | instid1(VALU_DEP_1)
	v_add_f64_e32 v[0:1], v[4:5], v[0:1]
	v_fma_f64 v[4:5], v[48:49], s[8:9], -v[18:19]
	v_add_f64_e32 v[2:3], v[4:5], v[2:3]
	v_fma_f64 v[4:5], v[37:38], s[18:19], v[23:24]
	s_delay_alu instid0(VALU_DEP_1) | instskip(SKIP_1) | instid1(VALU_DEP_1)
	v_add_f64_e32 v[0:1], v[4:5], v[0:1]
	v_fma_f64 v[4:5], v[39:40], s[18:19], -v[27:28]
	v_add_f64_e32 v[2:3], v[4:5], v[2:3]
	v_fma_f64 v[4:5], v[33:34], s[10:11], v[31:32]
	s_delay_alu instid0(VALU_DEP_1) | instskip(SKIP_1) | instid1(VALU_DEP_1)
	v_add_f64_e32 v[0:1], v[4:5], v[0:1]
	v_fma_f64 v[4:5], v[35:36], s[10:11], -v[158:159]
	v_add_f64_e32 v[2:3], v[4:5], v[2:3]
	v_fma_f64 v[4:5], v[42:43], s[16:17], v[164:165]
	s_delay_alu instid0(VALU_DEP_2)
	v_add_f64_e32 v[166:167], v[6:7], v[2:3]
	scratch_load_b64 v[2:3], off, off offset:168 th:TH_LOAD_LU ; 8-byte Folded Reload
	v_add_f64_e32 v[164:165], v[4:5], v[0:1]
	scratch_load_b64 v[4:5], off, off offset:160 th:TH_LOAD_LU ; 8-byte Folded Reload
	v_fma_f64 v[0:1], v[58:59], s[10:11], v[251:252]
	v_fma_f64 v[6:7], v[44:45], s[18:19], -v[29:30]
	s_wait_loadcnt 0x1
	s_delay_alu instid0(VALU_DEP_2) | instskip(SKIP_2) | instid1(VALU_DEP_1)
	v_add_f64_e32 v[0:1], v[0:1], v[2:3]
	v_fma_f64 v[2:3], v[60:61], s[10:11], -v[207:208]
	s_wait_loadcnt 0x0
	v_add_f64_e32 v[2:3], v[2:3], v[4:5]
	v_fma_f64 v[4:5], v[54:55], s[26:27], v[209:210]
	s_delay_alu instid0(VALU_DEP_1) | instskip(SKIP_1) | instid1(VALU_DEP_1)
	v_add_f64_e32 v[0:1], v[4:5], v[0:1]
	v_fma_f64 v[4:5], v[56:57], s[26:27], -v[253:254]
	v_add_f64_e32 v[2:3], v[4:5], v[2:3]
	v_fma_f64 v[4:5], v[50:51], s[6:7], v[21:22]
	s_delay_alu instid0(VALU_DEP_1) | instskip(SKIP_1) | instid1(VALU_DEP_1)
	v_add_f64_e32 v[0:1], v[4:5], v[0:1]
	v_fma_f64 v[4:5], v[52:53], s[6:7], -v[25:26]
	v_add_f64_e32 v[2:3], v[4:5], v[2:3]
	v_fma_f64 v[4:5], v[46:47], s[16:17], v[62:63]
	s_delay_alu instid0(VALU_DEP_1) | instskip(SKIP_1) | instid1(VALU_DEP_1)
	v_add_f64_e32 v[0:1], v[4:5], v[0:1]
	v_fma_f64 v[4:5], v[48:49], s[16:17], -v[64:65]
	v_add_f64_e32 v[2:3], v[4:5], v[2:3]
	v_fma_f64 v[4:5], v[37:38], s[24:25], v[66:67]
	s_delay_alu instid0(VALU_DEP_1) | instskip(SKIP_1) | instid1(VALU_DEP_1)
	v_add_f64_e32 v[0:1], v[4:5], v[0:1]
	v_fma_f64 v[4:5], v[39:40], s[24:25], -v[68:69]
	v_add_f64_e32 v[2:3], v[4:5], v[2:3]
	v_fma_f64 v[4:5], v[33:34], s[4:5], v[70:71]
	s_delay_alu instid0(VALU_DEP_1) | instskip(SKIP_1) | instid1(VALU_DEP_1)
	v_add_f64_e32 v[0:1], v[4:5], v[0:1]
	v_fma_f64 v[4:5], v[35:36], s[4:5], -v[72:73]
	v_add_f64_e32 v[2:3], v[4:5], v[2:3]
	v_fma_f64 v[4:5], v[42:43], s[18:19], v[195:196]
	s_delay_alu instid0(VALU_DEP_2)
	v_add_f64_e32 v[176:177], v[6:7], v[2:3]
	scratch_load_b64 v[2:3], off, off offset:152 th:TH_LOAD_LU ; 8-byte Folded Reload
	v_add_f64_e32 v[174:175], v[4:5], v[0:1]
	scratch_load_b64 v[4:5], off, off offset:144 th:TH_LOAD_LU ; 8-byte Folded Reload
	v_fma_f64 v[0:1], v[58:59], s[6:7], v[227:228]
	v_fma_f64 v[6:7], v[44:45], s[8:9], -v[249:250]
	s_wait_loadcnt 0x1
	s_delay_alu instid0(VALU_DEP_2) | instskip(SKIP_2) | instid1(VALU_DEP_1)
	v_add_f64_e32 v[0:1], v[0:1], v[2:3]
	v_fma_f64 v[2:3], v[60:61], s[6:7], -v[203:204]
	s_wait_loadcnt 0x0
	v_add_f64_e32 v[2:3], v[2:3], v[4:5]
	v_fma_f64 v[4:5], v[54:55], s[24:25], v[205:206]
	s_delay_alu instid0(VALU_DEP_1) | instskip(SKIP_1) | instid1(VALU_DEP_1)
	;; [unrolled: 39-line block ×4, first 2 shown]
	v_add_f64_e32 v[0:1], v[4:5], v[0:1]
	v_fma_f64 v[4:5], v[56:57], s[4:5], -v[104:105]
	v_add_f64_e32 v[2:3], v[4:5], v[2:3]
	v_fma_f64 v[4:5], v[50:51], s[10:11], v[110:111]
	s_delay_alu instid0(VALU_DEP_1) | instskip(SKIP_1) | instid1(VALU_DEP_1)
	v_add_f64_e32 v[0:1], v[4:5], v[0:1]
	v_fma_f64 v[4:5], v[52:53], s[10:11], -v[112:113]
	v_add_f64_e32 v[2:3], v[4:5], v[2:3]
	v_fma_f64 v[4:5], v[46:47], s[24:25], v[114:115]
	s_delay_alu instid0(VALU_DEP_1) | instskip(SKIP_1) | instid1(VALU_DEP_1)
	;; [unrolled: 5-line block ×4, first 2 shown]
	v_add_f64_e32 v[0:1], v[4:5], v[0:1]
	v_fma_f64 v[4:5], v[35:36], s[16:17], -v[124:125]
	v_add_f64_e32 v[2:3], v[4:5], v[2:3]
	v_fma_f64 v[4:5], v[42:43], s[6:7], v[126:127]
	s_delay_alu instid0(VALU_DEP_2) | instskip(NEXT) | instid1(VALU_DEP_2)
	v_add_f64_e32 v[104:105], v[6:7], v[2:3]
	v_add_f64_e32 v[102:103], v[4:5], v[0:1]
	s_clause 0x3
	scratch_load_b64 v[0:1], off, off offset:16 th:TH_LOAD_LU
	scratch_load_b64 v[6:7], off, off offset:56 th:TH_LOAD_LU
	scratch_load_b64 v[4:5], off, off th:TH_LOAD_LU
	scratch_load_b64 v[2:3], off, off offset:24 th:TH_LOAD_LU
	s_wait_loadcnt 0x3
	v_fma_f64 v[0:1], v[58:59], s[24:25], v[0:1]
	s_wait_loadcnt 0x2
	v_fma_f64 v[6:7], v[56:57], s[18:19], -v[6:7]
	s_wait_loadcnt 0x1
	s_delay_alu instid0(VALU_DEP_2) | instskip(SKIP_4) | instid1(VALU_DEP_1)
	v_add_f64_e32 v[0:1], v[0:1], v[4:5]
	scratch_load_b64 v[4:5], off, off offset:8 th:TH_LOAD_LU ; 8-byte Folded Reload
	s_wait_loadcnt 0x1
	v_fma_f64 v[2:3], v[60:61], s[24:25], -v[2:3]
	s_wait_loadcnt 0x0
	v_add_f64_e32 v[2:3], v[2:3], v[4:5]
	scratch_load_b64 v[4:5], off, off offset:32 th:TH_LOAD_LU ; 8-byte Folded Reload
	v_add_f64_e32 v[2:3], v[6:7], v[2:3]
	scratch_load_b64 v[6:7], off, off offset:72 th:TH_LOAD_LU ; 8-byte Folded Reload
	s_wait_loadcnt 0x1
	v_fma_f64 v[4:5], v[54:55], s[18:19], v[4:5]
	s_delay_alu instid0(VALU_DEP_1) | instskip(SKIP_3) | instid1(VALU_DEP_1)
	v_add_f64_e32 v[0:1], v[4:5], v[0:1]
	scratch_load_b64 v[4:5], off, off offset:64 th:TH_LOAD_LU ; 8-byte Folded Reload
	s_wait_loadcnt 0x1
	v_fma_f64 v[6:7], v[52:53], s[16:17], -v[6:7]
	v_add_f64_e32 v[2:3], v[6:7], v[2:3]
	scratch_load_b64 v[6:7], off, off offset:88 th:TH_LOAD_LU ; 8-byte Folded Reload
	s_wait_loadcnt 0x1
	v_fma_f64 v[4:5], v[50:51], s[16:17], v[4:5]
	s_delay_alu instid0(VALU_DEP_1) | instskip(SKIP_3) | instid1(VALU_DEP_1)
	v_add_f64_e32 v[0:1], v[4:5], v[0:1]
	scratch_load_b64 v[4:5], off, off offset:80 th:TH_LOAD_LU ; 8-byte Folded Reload
	s_wait_loadcnt 0x1
	v_fma_f64 v[6:7], v[48:49], s[10:11], -v[6:7]
	;; [unrolled: 9-line block ×3, first 2 shown]
	v_add_f64_e32 v[2:3], v[6:7], v[2:3]
	v_fma_f64 v[6:7], v[35:36], s[6:7], -v[192:193]
	s_delay_alu instid0(VALU_DEP_1) | instskip(SKIP_1) | instid1(VALU_DEP_1)
	v_add_f64_e32 v[2:3], v[6:7], v[2:3]
	v_fma_f64 v[6:7], v[44:45], s[4:5], -v[132:133]
	v_add_f64_e32 v[35:36], v[6:7], v[2:3]
	s_wait_loadcnt 0x0
	v_fma_f64 v[4:5], v[37:38], s[8:9], v[4:5]
	s_delay_alu instid0(VALU_DEP_1) | instskip(SKIP_3) | instid1(VALU_DEP_1)
	v_add_f64_e32 v[0:1], v[4:5], v[0:1]
	scratch_load_b64 v[4:5], off, off offset:112 th:TH_LOAD_LU ; 8-byte Folded Reload
	s_wait_loadcnt 0x0
	v_fma_f64 v[4:5], v[33:34], s[6:7], v[4:5]
	v_add_f64_e32 v[0:1], v[4:5], v[0:1]
	scratch_load_b64 v[4:5], off, off offset:120 th:TH_LOAD_LU ; 8-byte Folded Reload
	global_wb scope:SCOPE_SE
	s_wait_loadcnt 0x0
	s_wait_storecnt 0x0
	s_barrier_signal -1
	s_barrier_wait -1
	global_inv scope:SCOPE_SE
	ds_store_b128 v194, v[223:226]
	ds_store_b128 v194, v[106:109] offset:16
	ds_store_b128 v194, v[82:85] offset:32
	;; [unrolled: 1-line block ×13, first 2 shown]
	v_fma_f64 v[4:5], v[42:43], s[4:5], v[4:5]
	s_delay_alu instid0(VALU_DEP_1)
	v_add_f64_e32 v[33:34], v[4:5], v[0:1]
	v_mul_u32_u24_e32 v0, 0x223, v255
	ds_store_b128 v194, v[102:105] offset:224
	ds_store_b128 v194, v[98:101] offset:240
	ds_store_b128 v194, v[33:36] offset:256
	v_lshrrev_b32_e32 v3, 16, v0
	global_wb scope:SCOPE_SE
	s_wait_dscnt 0x0
	s_barrier_signal -1
	s_barrier_wait -1
	global_inv scope:SCOPE_SE
	v_mul_lo_u16 v0, 0x78, v3
	v_mul_lo_u32 v40, s14, v3
	v_lshlrev_b32_e32 v5, 4, v3
	s_delay_alu instid0(VALU_DEP_3) | instskip(NEXT) | instid1(VALU_DEP_1)
	v_sub_nc_u16 v4, v255, v0
	v_and_b32_e32 v2, 0xffff, v4
	s_delay_alu instid0(VALU_DEP_1) | instskip(NEXT) | instid1(VALU_DEP_1)
	v_mad_co_u64_u32 v[0:1], null, s12, v2, 0
	v_mad_co_u64_u32 v[1:2], null, s13, v2, v[1:2]
	v_mul_lo_u16 v2, v4, 17
	s_delay_alu instid0(VALU_DEP_1) | instskip(NEXT) | instid1(VALU_DEP_3)
	v_and_b32_e32 v2, 0xffff, v2
	v_lshlrev_b64_e32 v[0:1], 4, v[0:1]
	s_delay_alu instid0(VALU_DEP_2) | instskip(SKIP_1) | instid1(VALU_DEP_3)
	v_lshlrev_b32_e32 v4, 4, v2
	v_lshlrev_b64_e32 v[2:3], 4, v[40:41]
	v_add_co_u32 v30, vcc_lo, s0, v0
	s_wait_alu 0xfffd
	s_delay_alu instid0(VALU_DEP_4)
	v_add_co_ci_u32_e32 v31, vcc_lo, s1, v1, vcc_lo
	v_add3_u32 v6, 0, v4, v5
	v_add_nc_u32_e32 v40, s14, v40
	v_add3_u32 v26, 0, v5, v4
	v_add_co_u32 v16, vcc_lo, v30, v2
	s_wait_alu 0xfffd
	v_add_co_ci_u32_e32 v17, vcc_lo, v31, v3, vcc_lo
	v_lshlrev_b64_e32 v[18:19], 4, v[40:41]
	v_add_nc_u32_e32 v40, s14, v40
	ds_load_b128 v[0:3], v6
	ds_load_b128 v[4:7], v26 offset:16
	ds_load_b128 v[8:11], v26 offset:32
	;; [unrolled: 1-line block ×3, first 2 shown]
	v_lshlrev_b64_e32 v[20:21], 4, v[40:41]
	v_add_nc_u32_e32 v40, s14, v40
	v_add_co_u32 v18, vcc_lo, v30, v18
	s_wait_alu 0xfffd
	v_add_co_ci_u32_e32 v19, vcc_lo, v31, v19, vcc_lo
	s_delay_alu instid0(VALU_DEP_3) | instskip(SKIP_4) | instid1(VALU_DEP_4)
	v_lshlrev_b64_e32 v[22:23], 4, v[40:41]
	v_add_nc_u32_e32 v40, s14, v40
	v_add_co_u32 v20, vcc_lo, v30, v20
	s_wait_alu 0xfffd
	v_add_co_ci_u32_e32 v21, vcc_lo, v31, v21, vcc_lo
	v_add_co_u32 v22, vcc_lo, v30, v22
	v_lshlrev_b64_e32 v[24:25], 4, v[40:41]
	v_add_nc_u32_e32 v40, s14, v40
	s_wait_alu 0xfffd
	v_add_co_ci_u32_e32 v23, vcc_lo, v31, v23, vcc_lo
	s_wait_dscnt 0x3
	global_store_b128 v[16:17], v[0:3], off
	s_wait_dscnt 0x2
	global_store_b128 v[18:19], v[4:7], off
	;; [unrolled: 2-line block ×4, first 2 shown]
	ds_load_b128 v[0:3], v26 offset:64
	ds_load_b128 v[4:7], v26 offset:80
	v_lshlrev_b64_e32 v[16:17], 4, v[40:41]
	v_add_nc_u32_e32 v40, s14, v40
	ds_load_b128 v[8:11], v26 offset:96
	ds_load_b128 v[12:15], v26 offset:112
	v_add_co_u32 v18, vcc_lo, v30, v24
	s_wait_alu 0xfffd
	v_add_co_ci_u32_e32 v19, vcc_lo, v31, v25, vcc_lo
	v_lshlrev_b64_e32 v[20:21], 4, v[40:41]
	v_add_nc_u32_e32 v40, s14, v40
	v_add_co_u32 v16, vcc_lo, v30, v16
	s_wait_alu 0xfffd
	v_add_co_ci_u32_e32 v17, vcc_lo, v31, v17, vcc_lo
	s_delay_alu instid0(VALU_DEP_3) | instskip(SKIP_4) | instid1(VALU_DEP_4)
	v_lshlrev_b64_e32 v[22:23], 4, v[40:41]
	v_add_nc_u32_e32 v40, s14, v40
	v_add_co_u32 v20, vcc_lo, v30, v20
	s_wait_alu 0xfffd
	v_add_co_ci_u32_e32 v21, vcc_lo, v31, v21, vcc_lo
	v_add_co_u32 v22, vcc_lo, v30, v22
	v_lshlrev_b64_e32 v[24:25], 4, v[40:41]
	v_add_nc_u32_e32 v40, s14, v40
	s_wait_alu 0xfffd
	v_add_co_ci_u32_e32 v23, vcc_lo, v31, v23, vcc_lo
	s_wait_dscnt 0x3
	global_store_b128 v[18:19], v[0:3], off
	s_wait_dscnt 0x2
	global_store_b128 v[16:17], v[4:7], off
	s_wait_dscnt 0x1
	global_store_b128 v[20:21], v[8:11], off
	s_wait_dscnt 0x0
	global_store_b128 v[22:23], v[12:15], off
	ds_load_b128 v[0:3], v26 offset:128
	ds_load_b128 v[4:7], v26 offset:144
	v_lshlrev_b64_e32 v[16:17], 4, v[40:41]
	v_add_nc_u32_e32 v40, s14, v40
	ds_load_b128 v[8:11], v26 offset:160
	ds_load_b128 v[12:15], v26 offset:176
	v_add_co_u32 v18, vcc_lo, v30, v24
	s_wait_alu 0xfffd
	v_add_co_ci_u32_e32 v19, vcc_lo, v31, v25, vcc_lo
	v_lshlrev_b64_e32 v[20:21], 4, v[40:41]
	v_add_nc_u32_e32 v40, s14, v40
	v_add_co_u32 v16, vcc_lo, v30, v16
	s_wait_alu 0xfffd
	v_add_co_ci_u32_e32 v17, vcc_lo, v31, v17, vcc_lo
	s_delay_alu instid0(VALU_DEP_3) | instskip(SKIP_4) | instid1(VALU_DEP_3)
	v_lshlrev_b64_e32 v[22:23], 4, v[40:41]
	v_add_nc_u32_e32 v40, s14, v40
	v_add_co_u32 v20, vcc_lo, v30, v20
	s_wait_alu 0xfffd
	v_add_co_ci_u32_e32 v21, vcc_lo, v31, v21, vcc_lo
	v_lshlrev_b64_e32 v[24:25], 4, v[40:41]
	v_add_nc_u32_e32 v40, s14, v40
	v_add_co_u32 v22, vcc_lo, v30, v22
	s_wait_alu 0xfffd
	v_add_co_ci_u32_e32 v23, vcc_lo, v31, v23, vcc_lo
	s_wait_dscnt 0x3
	global_store_b128 v[18:19], v[0:3], off
	s_wait_dscnt 0x2
	global_store_b128 v[16:17], v[4:7], off
	;; [unrolled: 2-line block ×4, first 2 shown]
	v_lshlrev_b64_e32 v[8:9], 4, v[40:41]
	v_add_co_u32 v20, vcc_lo, v30, v24
	v_add_nc_u32_e32 v40, s14, v40
	s_wait_alu 0xfffd
	v_add_co_ci_u32_e32 v21, vcc_lo, v31, v25, vcc_lo
	s_delay_alu instid0(VALU_DEP_4)
	v_add_co_u32 v24, vcc_lo, v30, v8
	ds_load_b128 v[0:3], v26 offset:192
	ds_load_b128 v[4:7], v26 offset:208
	s_wait_alu 0xfffd
	v_add_co_ci_u32_e32 v25, vcc_lo, v31, v9, vcc_lo
	ds_load_b128 v[8:11], v26 offset:224
	ds_load_b128 v[12:15], v26 offset:240
	;; [unrolled: 1-line block ×3, first 2 shown]
	v_lshlrev_b64_e32 v[22:23], 4, v[40:41]
	v_add_nc_u32_e32 v40, s14, v40
	s_delay_alu instid0(VALU_DEP_1) | instskip(SKIP_1) | instid1(VALU_DEP_4)
	v_lshlrev_b64_e32 v[26:27], 4, v[40:41]
	v_add_nc_u32_e32 v40, s14, v40
	v_add_co_u32 v22, vcc_lo, v30, v22
	s_wait_alu 0xfffd
	v_add_co_ci_u32_e32 v23, vcc_lo, v31, v23, vcc_lo
	s_delay_alu instid0(VALU_DEP_3) | instskip(SKIP_3) | instid1(VALU_DEP_3)
	v_lshlrev_b64_e32 v[28:29], 4, v[40:41]
	v_add_co_u32 v26, vcc_lo, v30, v26
	s_wait_alu 0xfffd
	v_add_co_ci_u32_e32 v27, vcc_lo, v31, v27, vcc_lo
	v_add_co_u32 v28, vcc_lo, v30, v28
	s_wait_alu 0xfffd
	v_add_co_ci_u32_e32 v29, vcc_lo, v31, v29, vcc_lo
	s_wait_dscnt 0x4
	global_store_b128 v[20:21], v[0:3], off
	s_wait_dscnt 0x3
	global_store_b128 v[24:25], v[4:7], off
	;; [unrolled: 2-line block ×5, first 2 shown]
	s_nop 0
	s_sendmsg sendmsg(MSG_DEALLOC_VGPRS)
	s_endpgm
	.section	.rodata,"a",@progbits
	.p2align	6, 0x0
	.amdhsa_kernel fft_rtc_fwd_len17_factors_17_wgs_120_tpt_1_dp_op_CI_CI_sbrc_aligned
		.amdhsa_group_segment_fixed_size 0
		.amdhsa_private_segment_fixed_size 180
		.amdhsa_kernarg_size 104
		.amdhsa_user_sgpr_count 2
		.amdhsa_user_sgpr_dispatch_ptr 0
		.amdhsa_user_sgpr_queue_ptr 0
		.amdhsa_user_sgpr_kernarg_segment_ptr 1
		.amdhsa_user_sgpr_dispatch_id 0
		.amdhsa_user_sgpr_private_segment_size 0
		.amdhsa_wavefront_size32 1
		.amdhsa_uses_dynamic_stack 0
		.amdhsa_enable_private_segment 1
		.amdhsa_system_sgpr_workgroup_id_x 1
		.amdhsa_system_sgpr_workgroup_id_y 0
		.amdhsa_system_sgpr_workgroup_id_z 0
		.amdhsa_system_sgpr_workgroup_info 0
		.amdhsa_system_vgpr_workitem_id 0
		.amdhsa_next_free_vgpr 256
		.amdhsa_next_free_sgpr 58
		.amdhsa_reserve_vcc 1
		.amdhsa_float_round_mode_32 0
		.amdhsa_float_round_mode_16_64 0
		.amdhsa_float_denorm_mode_32 3
		.amdhsa_float_denorm_mode_16_64 3
		.amdhsa_fp16_overflow 0
		.amdhsa_workgroup_processor_mode 1
		.amdhsa_memory_ordered 1
		.amdhsa_forward_progress 0
		.amdhsa_round_robin_scheduling 0
		.amdhsa_exception_fp_ieee_invalid_op 0
		.amdhsa_exception_fp_denorm_src 0
		.amdhsa_exception_fp_ieee_div_zero 0
		.amdhsa_exception_fp_ieee_overflow 0
		.amdhsa_exception_fp_ieee_underflow 0
		.amdhsa_exception_fp_ieee_inexact 0
		.amdhsa_exception_int_div_zero 0
	.end_amdhsa_kernel
	.text
.Lfunc_end0:
	.size	fft_rtc_fwd_len17_factors_17_wgs_120_tpt_1_dp_op_CI_CI_sbrc_aligned, .Lfunc_end0-fft_rtc_fwd_len17_factors_17_wgs_120_tpt_1_dp_op_CI_CI_sbrc_aligned
                                        ; -- End function
	.section	.AMDGPU.csdata,"",@progbits
; Kernel info:
; codeLenInByte = 10636
; NumSgprs: 60
; NumVgprs: 256
; ScratchSize: 180
; MemoryBound: 0
; FloatMode: 240
; IeeeMode: 1
; LDSByteSize: 0 bytes/workgroup (compile time only)
; SGPRBlocks: 7
; VGPRBlocks: 31
; NumSGPRsForWavesPerEU: 60
; NumVGPRsForWavesPerEU: 256
; Occupancy: 5
; WaveLimiterHint : 1
; COMPUTE_PGM_RSRC2:SCRATCH_EN: 1
; COMPUTE_PGM_RSRC2:USER_SGPR: 2
; COMPUTE_PGM_RSRC2:TRAP_HANDLER: 0
; COMPUTE_PGM_RSRC2:TGID_X_EN: 1
; COMPUTE_PGM_RSRC2:TGID_Y_EN: 0
; COMPUTE_PGM_RSRC2:TGID_Z_EN: 0
; COMPUTE_PGM_RSRC2:TIDIG_COMP_CNT: 0
	.text
	.p2alignl 7, 3214868480
	.fill 96, 4, 3214868480
	.type	__hip_cuid_4c2d70504c73ec18,@object ; @__hip_cuid_4c2d70504c73ec18
	.section	.bss,"aw",@nobits
	.globl	__hip_cuid_4c2d70504c73ec18
__hip_cuid_4c2d70504c73ec18:
	.byte	0                               ; 0x0
	.size	__hip_cuid_4c2d70504c73ec18, 1

	.ident	"AMD clang version 19.0.0git (https://github.com/RadeonOpenCompute/llvm-project roc-6.4.0 25133 c7fe45cf4b819c5991fe208aaa96edf142730f1d)"
	.section	".note.GNU-stack","",@progbits
	.addrsig
	.addrsig_sym __hip_cuid_4c2d70504c73ec18
	.amdgpu_metadata
---
amdhsa.kernels:
  - .args:
      - .actual_access:  read_only
        .address_space:  global
        .offset:         0
        .size:           8
        .value_kind:     global_buffer
      - .offset:         8
        .size:           8
        .value_kind:     by_value
      - .actual_access:  read_only
        .address_space:  global
        .offset:         16
        .size:           8
        .value_kind:     global_buffer
      - .actual_access:  read_only
        .address_space:  global
        .offset:         24
        .size:           8
        .value_kind:     global_buffer
      - .actual_access:  read_only
        .address_space:  global
        .offset:         32
        .size:           8
        .value_kind:     global_buffer
      - .offset:         40
        .size:           8
        .value_kind:     by_value
      - .actual_access:  read_only
        .address_space:  global
        .offset:         48
        .size:           8
        .value_kind:     global_buffer
      - .actual_access:  read_only
        .address_space:  global
        .offset:         56
        .size:           8
        .value_kind:     global_buffer
      - .offset:         64
        .size:           4
        .value_kind:     by_value
      - .actual_access:  read_only
        .address_space:  global
        .offset:         72
        .size:           8
        .value_kind:     global_buffer
      - .actual_access:  read_only
        .address_space:  global
        .offset:         80
        .size:           8
        .value_kind:     global_buffer
      - .actual_access:  read_only
        .address_space:  global
        .offset:         88
        .size:           8
        .value_kind:     global_buffer
      - .actual_access:  write_only
        .address_space:  global
        .offset:         96
        .size:           8
        .value_kind:     global_buffer
    .group_segment_fixed_size: 0
    .kernarg_segment_align: 8
    .kernarg_segment_size: 104
    .language:       OpenCL C
    .language_version:
      - 2
      - 0
    .max_flat_workgroup_size: 120
    .name:           fft_rtc_fwd_len17_factors_17_wgs_120_tpt_1_dp_op_CI_CI_sbrc_aligned
    .private_segment_fixed_size: 180
    .sgpr_count:     60
    .sgpr_spill_count: 0
    .symbol:         fft_rtc_fwd_len17_factors_17_wgs_120_tpt_1_dp_op_CI_CI_sbrc_aligned.kd
    .uniform_work_group_size: 1
    .uses_dynamic_stack: false
    .vgpr_count:     256
    .vgpr_spill_count: 44
    .wavefront_size: 32
    .workgroup_processor_mode: 1
amdhsa.target:   amdgcn-amd-amdhsa--gfx1201
amdhsa.version:
  - 1
  - 2
...

	.end_amdgpu_metadata
